;; amdgpu-corpus repo=ROCm/rocFFT kind=compiled arch=gfx950 opt=O3
	.text
	.amdgcn_target "amdgcn-amd-amdhsa--gfx950"
	.amdhsa_code_object_version 6
	.protected	fft_rtc_back_len2880_factors_10_6_6_2_2_2_wgs_96_tpt_96_halfLds_sp_ip_CI_unitstride_sbrr_C2R_dirReg ; -- Begin function fft_rtc_back_len2880_factors_10_6_6_2_2_2_wgs_96_tpt_96_halfLds_sp_ip_CI_unitstride_sbrr_C2R_dirReg
	.globl	fft_rtc_back_len2880_factors_10_6_6_2_2_2_wgs_96_tpt_96_halfLds_sp_ip_CI_unitstride_sbrr_C2R_dirReg
	.p2align	8
	.type	fft_rtc_back_len2880_factors_10_6_6_2_2_2_wgs_96_tpt_96_halfLds_sp_ip_CI_unitstride_sbrr_C2R_dirReg,@function
fft_rtc_back_len2880_factors_10_6_6_2_2_2_wgs_96_tpt_96_halfLds_sp_ip_CI_unitstride_sbrr_C2R_dirReg: ; @fft_rtc_back_len2880_factors_10_6_6_2_2_2_wgs_96_tpt_96_halfLds_sp_ip_CI_unitstride_sbrr_C2R_dirReg
; %bb.0:
	s_load_dwordx2 s[8:9], s[0:1], 0x50
	s_load_dwordx4 s[4:7], s[0:1], 0x0
	s_load_dwordx2 s[10:11], s[0:1], 0x18
	v_mul_u32_u24_e32 v1, 0x2ab, v0
	v_add_u32_sdwa v6, s2, v1 dst_sel:DWORD dst_unused:UNUSED_PAD src0_sel:DWORD src1_sel:WORD_1
	v_mov_b32_e32 v4, 0
	s_waitcnt lgkmcnt(0)
	v_cmp_lt_u64_e64 s[2:3], s[6:7], 2
	v_mov_b32_e32 v7, v4
	s_and_b64 vcc, exec, s[2:3]
	v_mov_b64_e32 v[2:3], 0
	s_cbranch_vccnz .LBB0_8
; %bb.1:
	s_load_dwordx2 s[2:3], s[0:1], 0x10
	s_add_u32 s12, s10, 8
	s_addc_u32 s13, s11, 0
	s_mov_b64 s[14:15], 1
	v_mov_b64_e32 v[2:3], 0
	s_waitcnt lgkmcnt(0)
	s_add_u32 s16, s2, 8
	s_addc_u32 s17, s3, 0
.LBB0_2:                                ; =>This Inner Loop Header: Depth=1
	s_load_dwordx2 s[18:19], s[16:17], 0x0
                                        ; implicit-def: $vgpr8_vgpr9
	s_waitcnt lgkmcnt(0)
	v_or_b32_e32 v5, s19, v7
	v_cmp_ne_u64_e32 vcc, 0, v[4:5]
	s_and_saveexec_b64 s[2:3], vcc
	s_xor_b64 s[20:21], exec, s[2:3]
	s_cbranch_execz .LBB0_4
; %bb.3:                                ;   in Loop: Header=BB0_2 Depth=1
	v_cvt_f32_u32_e32 v1, s18
	v_cvt_f32_u32_e32 v5, s19
	s_sub_u32 s2, 0, s18
	s_subb_u32 s3, 0, s19
	v_fmac_f32_e32 v1, 0x4f800000, v5
	v_rcp_f32_e32 v1, v1
	s_nop 0
	v_mul_f32_e32 v1, 0x5f7ffffc, v1
	v_mul_f32_e32 v5, 0x2f800000, v1
	v_trunc_f32_e32 v5, v5
	v_fmac_f32_e32 v1, 0xcf800000, v5
	v_cvt_u32_f32_e32 v5, v5
	v_cvt_u32_f32_e32 v1, v1
	v_mul_lo_u32 v8, s2, v5
	v_mul_hi_u32 v10, s2, v1
	v_mul_lo_u32 v9, s3, v1
	v_add_u32_e32 v10, v10, v8
	v_mul_lo_u32 v12, s2, v1
	v_add_u32_e32 v13, v10, v9
	v_mul_hi_u32 v8, v1, v12
	v_mul_hi_u32 v11, v1, v13
	v_mul_lo_u32 v10, v1, v13
	v_mov_b32_e32 v9, v4
	v_lshl_add_u64 v[8:9], v[8:9], 0, v[10:11]
	v_mul_hi_u32 v11, v5, v12
	v_mul_lo_u32 v12, v5, v12
	v_add_co_u32_e32 v8, vcc, v8, v12
	v_mul_hi_u32 v10, v5, v13
	s_nop 0
	v_addc_co_u32_e32 v8, vcc, v9, v11, vcc
	v_mov_b32_e32 v9, v4
	s_nop 0
	v_addc_co_u32_e32 v11, vcc, 0, v10, vcc
	v_mul_lo_u32 v10, v5, v13
	v_lshl_add_u64 v[8:9], v[8:9], 0, v[10:11]
	v_add_co_u32_e32 v1, vcc, v1, v8
	v_mul_lo_u32 v10, s2, v1
	s_nop 0
	v_addc_co_u32_e32 v5, vcc, v5, v9, vcc
	v_mul_lo_u32 v8, s2, v5
	v_mul_hi_u32 v9, s2, v1
	v_add_u32_e32 v8, v9, v8
	v_mul_lo_u32 v9, s3, v1
	v_add_u32_e32 v12, v8, v9
	v_mul_hi_u32 v14, v5, v10
	v_mul_lo_u32 v15, v5, v10
	v_mul_hi_u32 v9, v1, v12
	v_mul_lo_u32 v8, v1, v12
	v_mul_hi_u32 v10, v1, v10
	v_mov_b32_e32 v11, v4
	v_lshl_add_u64 v[8:9], v[10:11], 0, v[8:9]
	v_add_co_u32_e32 v8, vcc, v8, v15
	v_mul_hi_u32 v13, v5, v12
	s_nop 0
	v_addc_co_u32_e32 v8, vcc, v9, v14, vcc
	v_mul_lo_u32 v10, v5, v12
	s_nop 0
	v_addc_co_u32_e32 v11, vcc, 0, v13, vcc
	v_mov_b32_e32 v9, v4
	v_lshl_add_u64 v[8:9], v[8:9], 0, v[10:11]
	v_add_co_u32_e32 v1, vcc, v1, v8
	v_mul_hi_u32 v10, v6, v1
	s_nop 0
	v_addc_co_u32_e32 v5, vcc, v5, v9, vcc
	v_mad_u64_u32 v[8:9], s[2:3], v6, v5, 0
	v_mov_b32_e32 v11, v4
	v_lshl_add_u64 v[8:9], v[10:11], 0, v[8:9]
	v_mad_u64_u32 v[12:13], s[2:3], v7, v1, 0
	v_add_co_u32_e32 v1, vcc, v8, v12
	v_mad_u64_u32 v[10:11], s[2:3], v7, v5, 0
	s_nop 0
	v_addc_co_u32_e32 v8, vcc, v9, v13, vcc
	v_mov_b32_e32 v9, v4
	s_nop 0
	v_addc_co_u32_e32 v11, vcc, 0, v11, vcc
	v_lshl_add_u64 v[8:9], v[8:9], 0, v[10:11]
	v_mul_lo_u32 v1, s19, v8
	v_mul_lo_u32 v5, s18, v9
	v_mad_u64_u32 v[10:11], s[2:3], s18, v8, 0
	v_add3_u32 v1, v11, v5, v1
	v_sub_u32_e32 v5, v7, v1
	v_mov_b32_e32 v11, s19
	v_sub_co_u32_e32 v14, vcc, v6, v10
	v_lshl_add_u64 v[12:13], v[8:9], 0, 1
	s_nop 0
	v_subb_co_u32_e64 v5, s[2:3], v5, v11, vcc
	v_subrev_co_u32_e64 v10, s[2:3], s18, v14
	v_subb_co_u32_e32 v1, vcc, v7, v1, vcc
	s_nop 0
	v_subbrev_co_u32_e64 v5, s[2:3], 0, v5, s[2:3]
	v_cmp_le_u32_e64 s[2:3], s19, v5
	v_cmp_le_u32_e32 vcc, s19, v1
	s_nop 0
	v_cndmask_b32_e64 v11, 0, -1, s[2:3]
	v_cmp_le_u32_e64 s[2:3], s18, v10
	s_nop 1
	v_cndmask_b32_e64 v10, 0, -1, s[2:3]
	v_cmp_eq_u32_e64 s[2:3], s19, v5
	s_nop 1
	v_cndmask_b32_e64 v5, v11, v10, s[2:3]
	v_lshl_add_u64 v[10:11], v[8:9], 0, 2
	v_cmp_ne_u32_e64 s[2:3], 0, v5
	s_nop 1
	v_cndmask_b32_e64 v5, v13, v11, s[2:3]
	v_cndmask_b32_e64 v11, 0, -1, vcc
	v_cmp_le_u32_e32 vcc, s18, v14
	s_nop 1
	v_cndmask_b32_e64 v13, 0, -1, vcc
	v_cmp_eq_u32_e32 vcc, s19, v1
	s_nop 1
	v_cndmask_b32_e32 v1, v11, v13, vcc
	v_cmp_ne_u32_e32 vcc, 0, v1
	v_cndmask_b32_e64 v1, v12, v10, s[2:3]
	s_nop 0
	v_cndmask_b32_e32 v9, v9, v5, vcc
	v_cndmask_b32_e32 v8, v8, v1, vcc
.LBB0_4:                                ;   in Loop: Header=BB0_2 Depth=1
	s_andn2_saveexec_b64 s[2:3], s[20:21]
	s_cbranch_execz .LBB0_6
; %bb.5:                                ;   in Loop: Header=BB0_2 Depth=1
	v_cvt_f32_u32_e32 v1, s18
	s_sub_i32 s20, 0, s18
	v_rcp_iflag_f32_e32 v1, v1
	s_nop 0
	v_mul_f32_e32 v1, 0x4f7ffffe, v1
	v_cvt_u32_f32_e32 v1, v1
	v_mul_lo_u32 v5, s20, v1
	v_mul_hi_u32 v5, v1, v5
	v_add_u32_e32 v1, v1, v5
	v_mul_hi_u32 v1, v6, v1
	v_mul_lo_u32 v5, v1, s18
	v_sub_u32_e32 v5, v6, v5
	v_add_u32_e32 v8, 1, v1
	v_subrev_u32_e32 v9, s18, v5
	v_cmp_le_u32_e32 vcc, s18, v5
	s_nop 1
	v_cndmask_b32_e32 v5, v5, v9, vcc
	v_cndmask_b32_e32 v1, v1, v8, vcc
	v_add_u32_e32 v8, 1, v1
	v_cmp_le_u32_e32 vcc, s18, v5
	v_mov_b32_e32 v9, v4
	s_nop 0
	v_cndmask_b32_e32 v8, v1, v8, vcc
.LBB0_6:                                ;   in Loop: Header=BB0_2 Depth=1
	s_or_b64 exec, exec, s[2:3]
	v_mad_u64_u32 v[10:11], s[2:3], v8, s18, 0
	s_load_dwordx2 s[2:3], s[12:13], 0x0
	v_mul_lo_u32 v1, v9, s18
	v_mul_lo_u32 v5, v8, s19
	v_add3_u32 v1, v11, v5, v1
	v_sub_co_u32_e32 v5, vcc, v6, v10
	s_add_u32 s14, s14, 1
	s_nop 0
	v_subb_co_u32_e32 v1, vcc, v7, v1, vcc
	s_addc_u32 s15, s15, 0
	s_waitcnt lgkmcnt(0)
	v_mul_lo_u32 v1, s2, v1
	v_mul_lo_u32 v6, s3, v5
	v_mad_u64_u32 v[2:3], s[2:3], s2, v5, v[2:3]
	s_add_u32 s12, s12, 8
	v_add3_u32 v3, v6, v3, v1
	s_addc_u32 s13, s13, 0
	v_mov_b64_e32 v[6:7], s[6:7]
	s_add_u32 s16, s16, 8
	v_cmp_ge_u64_e32 vcc, s[14:15], v[6:7]
	s_addc_u32 s17, s17, 0
	s_cbranch_vccnz .LBB0_9
; %bb.7:                                ;   in Loop: Header=BB0_2 Depth=1
	v_mov_b64_e32 v[6:7], v[8:9]
	s_branch .LBB0_2
.LBB0_8:
	v_mov_b64_e32 v[8:9], v[6:7]
.LBB0_9:
	s_lshl_b64 s[2:3], s[6:7], 3
	s_add_u32 s2, s10, s2
	s_addc_u32 s3, s11, s3
	s_load_dwordx2 s[6:7], s[2:3], 0x0
	s_load_dwordx2 s[10:11], s[0:1], 0x20
	s_mov_b32 s2, 0x2aaaaab
	v_mov_b32_e32 v65, 0
	s_waitcnt lgkmcnt(0)
	v_mul_lo_u32 v1, s6, v9
	v_mul_lo_u32 v4, s7, v8
	v_mad_u64_u32 v[2:3], s[0:1], s6, v8, v[2:3]
	v_add3_u32 v3, v4, v3, v1
	v_mul_hi_u32 v1, v0, s2
	v_mul_u32_u24_e32 v1, 0x60, v1
	v_sub_u32_e32 v64, v0, v1
	v_cmp_gt_u64_e64 s[0:1], s[10:11], v[8:9]
	v_lshl_add_u64 v[60:61], v[2:3], 3, s[8:9]
	v_mov_b32_e32 v62, v64
	s_and_saveexec_b64 s[6:7], s[0:1]
	s_cbranch_execz .LBB0_13
; %bb.10:
	v_lshl_add_u64 v[0:1], v[64:65], 3, v[60:61]
	global_load_dwordx2 v[2:3], v[0:1], off
	global_load_dwordx2 v[4:5], v[0:1], off offset:768
	global_load_dwordx2 v[6:7], v[0:1], off offset:1536
	;; [unrolled: 1-line block ×3, first 2 shown]
	s_movk_i32 s2, 0x2000
	v_add_co_u32_e64 v24, s[2:3], s2, v0
	s_movk_i32 s8, 0x3000
	s_nop 0
	v_addc_co_u32_e64 v25, s[2:3], 0, v1, s[2:3]
	v_add_co_u32_e64 v26, s[2:3], s8, v0
	v_or_b32_e32 v10, 0x300, v64
	v_mov_b32_e32 v11, v65
	v_or_b32_e32 v12, 0x480, v64
	v_mov_b32_e32 v13, v65
	v_or_b32_e32 v14, 0x600, v64
	v_mov_b32_e32 v15, v65
	s_movk_i32 s9, 0x4000
	v_add_co_u32_e32 v22, vcc, 0x1000, v0
	v_addc_co_u32_e64 v27, s[2:3], 0, v1, s[2:3]
	v_or_b32_e32 v16, 0x780, v64
	v_mov_b32_e32 v17, v65
	v_lshl_add_u64 v[10:11], v[10:11], 3, v[60:61]
	v_lshl_add_u64 v[12:13], v[12:13], 3, v[60:61]
	;; [unrolled: 1-line block ×3, first 2 shown]
	v_add_co_u32_e64 v28, s[2:3], s9, v0
	v_addc_co_u32_e32 v23, vcc, 0, v1, vcc
	v_lshl_add_u64 v[16:17], v[16:17], 3, v[60:61]
	v_addc_co_u32_e64 v29, s[2:3], 0, v1, s[2:3]
	global_load_dwordx2 v[30:31], v[24:25], off offset:1792
	global_load_dwordx2 v[32:33], v[24:25], off offset:2560
	;; [unrolled: 1-line block ×8, first 2 shown]
	global_load_dwordx2 v[46:47], v[10:11], off
	global_load_dwordx2 v[48:49], v[22:23], off offset:3584
	global_load_dwordx2 v[50:51], v[12:13], off
	global_load_dwordx2 v[52:53], v[24:25], off offset:3328
	;; [unrolled: 2-line block ×3, first 2 shown]
	global_load_dwordx2 v[58:59], v[26:27], off offset:1536
                                        ; kill: killed $vgpr12_vgpr13
                                        ; kill: killed $vgpr10_vgpr11
                                        ; kill: killed $vgpr22 killed $vgpr23
                                        ; kill: killed $vgpr14_vgpr15
                                        ; kill: killed $vgpr24 killed $vgpr25
	global_load_dwordx2 v[10:11], v[26:27], off offset:2304
	global_load_dwordx2 v[12:13], v[28:29], off offset:1280
	s_nop 0
	global_load_dwordx2 v[14:15], v[28:29], off offset:512
	global_load_dwordx2 v[22:23], v[16:17], off
	global_load_dwordx2 v[24:25], v[26:27], off offset:3840
	s_movk_i32 s10, 0x5000
	v_or_b32_e32 v18, 0x900, v64
	v_mov_b32_e32 v19, v65
	v_or_b32_e32 v20, 0xa80, v64
	v_mov_b32_e32 v21, v65
	v_add_co_u32_e32 v0, vcc, s10, v0
	v_lshl_add_u64 v[18:19], v[18:19], 3, v[60:61]
	s_nop 0
	v_addc_co_u32_e32 v1, vcc, 0, v1, vcc
	v_lshl_add_u64 v[16:17], v[20:21], 3, v[60:61]
	global_load_dwordx2 v[20:21], v[28:29], off offset:2816
	global_load_dwordx2 v[26:27], v[18:19], off
	global_load_dwordx2 v[62:63], v[0:1], off offset:256
	global_load_dwordx2 v[66:67], v[28:29], off offset:3584
	global_load_dwordx2 v[68:69], v[16:17], off
	global_load_dwordx2 v[70:71], v[0:1], off offset:1792
	v_lshl_add_u32 v0, v64, 3, 0
	v_add_u32_e32 v1, 0x400, v0
	v_add_u32_e32 v16, 0x800, v0
	;; [unrolled: 1-line block ×4, first 2 shown]
	s_movk_i32 s2, 0x5f
	v_cmp_eq_u32_e32 vcc, s2, v64
	s_waitcnt vmcnt(28)
	ds_write2_b64 v0, v[2:3], v[4:5] offset1:96
	s_waitcnt vmcnt(26)
	ds_write2_b64 v1, v[6:7], v[8:9] offset0:64 offset1:160
	s_waitcnt vmcnt(22)
	ds_write2_b64 v16, v[34:35], v[36:37] offset0:128 offset1:224
	s_waitcnt vmcnt(20)
	ds_write2_b64 v17, v[38:39], v[40:41] offset0:64 offset1:160
	s_waitcnt vmcnt(17)
	ds_write2_b64 v18, v[46:47], v[42:43] offset1:96
	v_add_u32_e32 v1, 0x1c00, v0
	s_waitcnt vmcnt(16)
	ds_write2_b64 v1, v[48:49], v[44:45] offset0:64 offset1:160
	v_add_u32_e32 v1, 0x2000, v0
	s_waitcnt vmcnt(15)
	ds_write2_b64 v1, v[50:51], v[30:31] offset0:128 offset1:224
	;; [unrolled: 3-line block ×3, first 2 shown]
	v_add_u32_e32 v1, 0x3000, v0
	s_waitcnt vmcnt(12)
	ds_write2_b64 v1, v[54:55], v[56:57] offset1:96
	v_add_u32_e32 v1, 0x3400, v0
	s_waitcnt vmcnt(10)
	ds_write2_b64 v1, v[58:59], v[10:11] offset0:64 offset1:160
	v_add_u32_e32 v1, 0x3800, v0
	s_waitcnt vmcnt(6)
	ds_write2_b64 v1, v[22:23], v[24:25] offset0:128 offset1:224
	v_add_u32_e32 v1, 0x4000, v0
	ds_write2_b64 v1, v[14:15], v[12:13] offset0:64 offset1:160
	v_add_u32_e32 v1, 0x4800, v0
	s_waitcnt vmcnt(4)
	ds_write2_b64 v1, v[26:27], v[20:21] offset1:96
	v_add_u32_e32 v1, 0x4c00, v0
	v_add_u32_e32 v0, 0x5000, v0
	s_waitcnt vmcnt(2)
	ds_write2_b64 v1, v[66:67], v[62:63] offset0:64 offset1:160
	s_waitcnt vmcnt(0)
	ds_write2_b64 v0, v[68:69], v[70:71] offset0:128 offset1:224
	v_mov_b64_e32 v[0:1], v[64:65]
	s_and_saveexec_b64 s[2:3], vcc
	s_cbranch_execz .LBB0_12
; %bb.11:
	v_add_co_u32_e32 v0, vcc, 0x5000, v60
	v_mov_b32_e32 v2, 0
	s_nop 0
	v_addc_co_u32_e32 v1, vcc, 0, v61, vcc
	global_load_dwordx2 v[0:1], v[0:1], off offset:2560
	v_mov_b32_e32 v64, 0x5f
	s_waitcnt vmcnt(0)
	ds_write_b64 v2, v[0:1] offset:23040
	v_mov_b64_e32 v[0:1], 0x5f
.LBB0_12:
	s_or_b64 exec, exec, s[2:3]
	v_mov_b32_e32 v62, v64
	v_mov_b64_e32 v[64:65], v[0:1]
.LBB0_13:
	s_or_b64 exec, exec, s[6:7]
	v_lshlrev_b32_e32 v0, 3, v62
	v_add_u32_e32 v118, 0, v0
	s_waitcnt lgkmcnt(0)
	s_barrier
	v_sub_u32_e32 v14, 0, v0
	ds_read_b32 v0, v118
	ds_read_b32 v1, v14 offset:23040
	s_add_u32 s2, s4, 0x59b0
	s_addc_u32 s3, s5, 0
	v_cmp_ne_u32_e32 vcc, 0, v62
	s_waitcnt lgkmcnt(0)
	v_add_f32_e32 v2, v1, v0
	v_sub_f32_e32 v3, v0, v1
	s_and_saveexec_b64 s[6:7], vcc
	s_xor_b64 s[6:7], exec, s[6:7]
	s_cbranch_execz .LBB0_15
; %bb.14:
	v_lshl_add_u64 v[0:1], v[64:65], 3, s[2:3]
	global_load_dwordx2 v[0:1], v[0:1], off
	ds_read_b32 v7, v14 offset:23044
	ds_read_b32 v8, v118 offset:4
	v_mov_b32_e32 v4, v3
	v_mov_b32_e32 v6, v2
	v_mov_b32_e32 v9, v3
	s_waitcnt lgkmcnt(0)
	v_add_f32_e32 v5, v7, v8
	v_sub_f32_e32 v7, v8, v7
	v_mov_b32_e32 v8, v5
	s_waitcnt vmcnt(0)
	v_pk_mul_f32 v[10:11], v[4:5], v[0:1] op_sel:[0,1]
	v_pk_fma_f32 v[4:5], v[4:5], v[0:1], v[6:7] op_sel:[0,1,0]
	v_mov_b32_e32 v3, v11
	v_mov_b32_e32 v11, v7
	v_pk_fma_f32 v[12:13], v[0:1], v[8:9], v[4:5] neg_lo:[1,0,0] neg_hi:[1,0,0]
	v_pk_fma_f32 v[4:5], v[0:1], v[8:9], v[4:5] op_sel_hi:[0,1,1]
	v_pk_add_f32 v[2:3], v[2:3], v[10:11] neg_lo:[0,1] neg_hi:[0,1]
	v_mov_b32_e32 v13, v5
	v_pk_fma_f32 v[0:1], v[0:1], v[8:9], v[2:3] op_sel_hi:[0,1,1]
	ds_write_b64 v14, v[0:1] offset:23040
	v_mov_b64_e32 v[2:3], v[12:13]
.LBB0_15:
	s_andn2_saveexec_b64 s[6:7], s[6:7]
	s_cbranch_execz .LBB0_17
; %bb.16:
	v_mov_b32_e32 v4, 0
	ds_read_b64 v[0:1], v4 offset:11520
	s_mov_b32 s8, 2.0
	s_mov_b32 s9, -2.0
	s_waitcnt lgkmcnt(0)
	v_pk_mul_f32 v[0:1], v[0:1], s[8:9]
	ds_write_b64 v4, v[0:1] offset:11520
.LBB0_17:
	s_or_b64 exec, exec, s[6:7]
	v_mov_b32_e32 v63, 0
	v_lshlrev_b64 v[76:77], 3, v[62:63]
	v_lshl_add_u64 v[0:1], s[2:3], 0, v[76:77]
	global_load_dwordx2 v[4:5], v[0:1], off offset:768
	v_add_u32_e32 v82, 0xc0, v62
	v_mov_b32_e32 v83, v63
	v_lshlrev_b64 v[74:75], 3, v[82:83]
	v_lshl_add_u64 v[6:7], s[2:3], 0, v[74:75]
	global_load_dwordx2 v[6:7], v[6:7], off
	v_add_u32_e32 v72, 0x120, v62
	v_mov_b32_e32 v73, v63
	v_lshlrev_b64 v[68:69], 3, v[72:73]
	v_lshl_add_u64 v[8:9], s[2:3], 0, v[68:69]
	global_load_dwordx2 v[8:9], v[8:9], off
	ds_write_b64 v118, v[2:3]
	ds_read_b64 v[2:3], v118 offset:768
	ds_read_b64 v[16:17], v14 offset:22272
	global_load_dwordx2 v[10:11], v[0:1], off offset:3072
	global_load_dwordx2 v[12:13], v[0:1], off offset:3840
	v_lshl_add_u32 v73, v82, 3, 0
	s_movk_i32 s18, 0x1000
	v_lshl_add_u32 v83, v72, 3, 0
	s_waitcnt lgkmcnt(0)
	v_pk_add_f32 v[18:19], v[2:3], v[16:17] neg_lo:[0,1] neg_hi:[0,1]
	v_pk_add_f32 v[2:3], v[2:3], v[16:17]
	v_mov_b32_e32 v16, v18
	v_mov_b32_e32 v17, v3
	;; [unrolled: 1-line block ×6, first 2 shown]
	v_or_b32_e32 v78, 0x300, v62
	v_mov_b32_e32 v79, v63
	v_lshlrev_b64 v[66:67], 3, v[78:79]
	s_movk_i32 s11, 0x2000
	v_or_b32_e32 v80, 0x480, v62
	v_mov_b32_e32 v81, v63
	v_lshlrev_b64 v[70:71], 3, v[80:81]
	v_add_u32_e32 v81, 0x1000, v118
	v_add_u32_e32 v79, 0x2000, v118
	;; [unrolled: 1-line block ×4, first 2 shown]
	s_mov_b32 s6, 0x3f737871
	v_add_u32_e32 v120, 0x1800, v118
	v_add_u32_e32 v123, 0x2800, v118
	;; [unrolled: 1-line block ×4, first 2 shown]
	s_mov_b32 s8, 0x3e9e377a
	s_mov_b32 s10, 0x3f4f1bbd
	v_add_u32_e32 v128, 0x3000, v118
	v_add_u32_e32 v127, 0x4000, v118
	;; [unrolled: 1-line block ×4, first 2 shown]
	s_movk_i32 s19, 0x48
	s_mov_b32 s12, s8
	s_mov_b32 s13, s6
	;; [unrolled: 1-line block ×5, first 2 shown]
	s_waitcnt vmcnt(4)
	v_pk_mul_f32 v[24:25], v[16:17], v[4:5] op_sel:[0,1]
	v_pk_fma_f32 v[16:17], v[16:17], v[4:5], v[20:21] op_sel:[0,1,0]
	v_mov_b32_e32 v3, v25
	v_mov_b32_e32 v25, v19
	v_pk_fma_f32 v[20:21], v[4:5], v[22:23], v[16:17] neg_lo:[1,0,0] neg_hi:[1,0,0]
	v_pk_fma_f32 v[16:17], v[4:5], v[22:23], v[16:17] op_sel_hi:[0,1,1]
	v_pk_add_f32 v[2:3], v[2:3], v[24:25] neg_lo:[0,1] neg_hi:[0,1]
	v_mov_b32_e32 v21, v17
	v_pk_fma_f32 v[2:3], v[4:5], v[22:23], v[2:3] op_sel_hi:[0,1,1]
	ds_write_b64 v118, v[20:21] offset:768
	ds_write_b64 v14, v[2:3] offset:22272
	ds_read_b64 v[2:3], v14 offset:21504
	ds_read_b64 v[4:5], v73
	s_waitcnt lgkmcnt(0)
	v_pk_add_f32 v[16:17], v[4:5], v[2:3] neg_lo:[0,1] neg_hi:[0,1]
	v_pk_add_f32 v[2:3], v[4:5], v[2:3]
	v_mov_b32_e32 v4, v16
	v_mov_b32_e32 v5, v3
	;; [unrolled: 1-line block ×4, first 2 shown]
	s_waitcnt vmcnt(3)
	v_pk_mul_f32 v[22:23], v[4:5], v[6:7] op_sel:[0,1]
	v_mov_b32_e32 v20, v3
	v_mov_b32_e32 v21, v16
	v_pk_fma_f32 v[4:5], v[4:5], v[6:7], v[18:19] op_sel:[0,1,0]
	v_mov_b32_e32 v3, v23
	v_mov_b32_e32 v23, v17
	v_pk_fma_f32 v[18:19], v[6:7], v[20:21], v[4:5] neg_lo:[1,0,0] neg_hi:[1,0,0]
	v_pk_fma_f32 v[4:5], v[6:7], v[20:21], v[4:5] op_sel_hi:[0,1,1]
	v_pk_add_f32 v[2:3], v[2:3], v[22:23] neg_lo:[0,1] neg_hi:[0,1]
	v_mov_b32_e32 v19, v5
	v_pk_fma_f32 v[2:3], v[6:7], v[20:21], v[2:3] op_sel_hi:[0,1,1]
	ds_write_b64 v73, v[18:19]
	ds_write_b64 v14, v[2:3] offset:21504
	v_add_co_u32_e32 v2, vcc, s18, v0
	ds_read_b64 v[16:17], v14 offset:20736
	ds_read_b64 v[18:19], v83
	v_addc_co_u32_e32 v3, vcc, 0, v1, vcc
	global_load_dwordx2 v[20:21], v[2:3], off offset:512
	global_load_dwordx2 v[4:5], v[2:3], off offset:1280
	;; [unrolled: 1-line block ×3, first 2 shown]
	v_add_co_u32_e32 v0, vcc, s11, v0
	s_waitcnt lgkmcnt(0)
	v_pk_add_f32 v[22:23], v[18:19], v[16:17] neg_lo:[0,1] neg_hi:[0,1]
	v_pk_add_f32 v[16:17], v[18:19], v[16:17]
	v_mov_b32_e32 v18, v22
	v_mov_b32_e32 v19, v17
	;; [unrolled: 1-line block ×4, first 2 shown]
	s_waitcnt vmcnt(5)
	v_pk_mul_f32 v[28:29], v[18:19], v[8:9] op_sel:[0,1]
	v_mov_b32_e32 v26, v17
	v_mov_b32_e32 v27, v22
	v_pk_fma_f32 v[18:19], v[18:19], v[8:9], v[24:25] op_sel:[0,1,0]
	v_mov_b32_e32 v17, v29
	v_mov_b32_e32 v29, v23
	v_pk_fma_f32 v[24:25], v[8:9], v[26:27], v[18:19] neg_lo:[1,0,0] neg_hi:[1,0,0]
	v_pk_fma_f32 v[18:19], v[8:9], v[26:27], v[18:19] op_sel_hi:[0,1,1]
	v_pk_add_f32 v[16:17], v[16:17], v[28:29] neg_lo:[0,1] neg_hi:[0,1]
	v_mov_b32_e32 v25, v19
	v_pk_fma_f32 v[8:9], v[8:9], v[26:27], v[16:17] op_sel_hi:[0,1,1]
	ds_write_b64 v83, v[24:25]
	ds_write_b64 v14, v[8:9] offset:20736
	ds_read_b64 v[8:9], v14 offset:19968
	ds_read_b64 v[16:17], v118 offset:3072
	v_addc_co_u32_e32 v1, vcc, 0, v1, vcc
	v_cmp_gt_u32_e32 vcc, 60, v62
	s_waitcnt lgkmcnt(0)
	v_pk_add_f32 v[18:19], v[16:17], v[8:9] neg_lo:[0,1] neg_hi:[0,1]
	v_pk_add_f32 v[8:9], v[16:17], v[8:9]
	v_mov_b32_e32 v16, v18
	v_mov_b32_e32 v17, v9
	;; [unrolled: 1-line block ×4, first 2 shown]
	s_waitcnt vmcnt(4)
	v_pk_mul_f32 v[26:27], v[16:17], v[10:11] op_sel:[0,1]
	v_mov_b32_e32 v24, v9
	v_mov_b32_e32 v25, v18
	v_pk_fma_f32 v[16:17], v[16:17], v[10:11], v[22:23] op_sel:[0,1,0]
	v_mov_b32_e32 v9, v27
	v_mov_b32_e32 v27, v19
	v_pk_fma_f32 v[22:23], v[10:11], v[24:25], v[16:17] neg_lo:[1,0,0] neg_hi:[1,0,0]
	v_pk_fma_f32 v[16:17], v[10:11], v[24:25], v[16:17] op_sel_hi:[0,1,1]
	v_pk_add_f32 v[8:9], v[8:9], v[26:27] neg_lo:[0,1] neg_hi:[0,1]
	v_mov_b32_e32 v23, v17
	v_pk_fma_f32 v[8:9], v[10:11], v[24:25], v[8:9] op_sel_hi:[0,1,1]
	ds_write_b64 v118, v[22:23] offset:3072
	ds_write_b64 v14, v[8:9] offset:19968
	v_lshl_add_u64 v[8:9], s[2:3], 0, v[66:67]
	ds_read_b64 v[10:11], v14 offset:19200
	ds_read_b64 v[16:17], v118 offset:3840
	global_load_dwordx2 v[8:9], v[8:9], off
	s_waitcnt lgkmcnt(0)
	v_pk_add_f32 v[18:19], v[16:17], v[10:11] neg_lo:[0,1] neg_hi:[0,1]
	v_pk_add_f32 v[10:11], v[16:17], v[10:11]
	v_mov_b32_e32 v16, v18
	v_mov_b32_e32 v17, v11
	;; [unrolled: 1-line block ×4, first 2 shown]
	s_waitcnt vmcnt(4)
	v_pk_mul_f32 v[26:27], v[16:17], v[12:13] op_sel:[0,1]
	v_mov_b32_e32 v24, v11
	v_mov_b32_e32 v25, v18
	v_pk_fma_f32 v[16:17], v[16:17], v[12:13], v[22:23] op_sel:[0,1,0]
	v_mov_b32_e32 v11, v27
	v_mov_b32_e32 v27, v19
	v_pk_fma_f32 v[22:23], v[12:13], v[24:25], v[16:17] neg_lo:[1,0,0] neg_hi:[1,0,0]
	v_pk_fma_f32 v[16:17], v[12:13], v[24:25], v[16:17] op_sel_hi:[0,1,1]
	v_pk_add_f32 v[10:11], v[10:11], v[26:27] neg_lo:[0,1] neg_hi:[0,1]
	v_mov_b32_e32 v23, v17
	v_pk_fma_f32 v[10:11], v[12:13], v[24:25], v[10:11] op_sel_hi:[0,1,1]
	ds_write_b64 v118, v[22:23] offset:3840
	ds_write_b64 v14, v[10:11] offset:19200
	ds_read_b64 v[10:11], v14 offset:18432
	ds_read_b64 v[12:13], v118 offset:4608
	s_waitcnt lgkmcnt(0)
	v_pk_add_f32 v[16:17], v[12:13], v[10:11] neg_lo:[0,1] neg_hi:[0,1]
	v_pk_add_f32 v[10:11], v[12:13], v[10:11]
	v_mov_b32_e32 v12, v16
	v_mov_b32_e32 v13, v11
	;; [unrolled: 1-line block ×4, first 2 shown]
	s_waitcnt vmcnt(3)
	v_pk_mul_f32 v[22:23], v[12:13], v[20:21] op_sel:[0,1]
	v_pk_fma_f32 v[12:13], v[12:13], v[20:21], v[18:19] op_sel:[0,1,0]
	v_mov_b32_e32 v18, v11
	v_mov_b32_e32 v19, v16
	v_mov_b32_e32 v11, v23
	v_mov_b32_e32 v23, v17
	v_pk_fma_f32 v[24:25], v[20:21], v[18:19], v[12:13] neg_lo:[1,0,0] neg_hi:[1,0,0]
	v_pk_fma_f32 v[12:13], v[20:21], v[18:19], v[12:13] op_sel_hi:[0,1,1]
	v_pk_add_f32 v[10:11], v[10:11], v[22:23] neg_lo:[0,1] neg_hi:[0,1]
	v_mov_b32_e32 v25, v13
	v_pk_fma_f32 v[10:11], v[20:21], v[18:19], v[10:11] op_sel_hi:[0,1,1]
	ds_write_b64 v118, v[24:25] offset:4608
	ds_write_b64 v14, v[10:11] offset:18432
	ds_read_b64 v[10:11], v14 offset:17664
	ds_read_b64 v[12:13], v118 offset:5376
	global_load_dwordx2 v[22:23], v[0:1], off offset:256
	global_load_dwordx2 v[24:25], v[0:1], off offset:1792
	;; [unrolled: 1-line block ×3, first 2 shown]
	s_waitcnt lgkmcnt(0)
	v_pk_add_f32 v[16:17], v[12:13], v[10:11] neg_lo:[0,1] neg_hi:[0,1]
	v_pk_add_f32 v[10:11], v[12:13], v[10:11]
	v_mov_b32_e32 v12, v16
	v_mov_b32_e32 v13, v11
	;; [unrolled: 1-line block ×4, first 2 shown]
	s_waitcnt vmcnt(5)
	v_pk_mul_f32 v[20:21], v[12:13], v[4:5] op_sel:[0,1]
	v_pk_fma_f32 v[2:3], v[12:13], v[4:5], v[18:19] op_sel:[0,1,0]
	v_mov_b32_e32 v12, v11
	v_mov_b32_e32 v13, v16
	v_pk_fma_f32 v[18:19], v[4:5], v[12:13], v[2:3] neg_lo:[1,0,0] neg_hi:[1,0,0]
	v_pk_fma_f32 v[2:3], v[4:5], v[12:13], v[2:3] op_sel_hi:[0,1,1]
	v_mov_b32_e32 v11, v21
	v_mov_b32_e32 v21, v17
	;; [unrolled: 1-line block ×3, first 2 shown]
	v_pk_add_f32 v[2:3], v[10:11], v[20:21] neg_lo:[0,1] neg_hi:[0,1]
	ds_write_b64 v118, v[18:19] offset:5376
	v_pk_fma_f32 v[2:3], v[4:5], v[12:13], v[2:3] op_sel_hi:[0,1,1]
	ds_write_b64 v14, v[2:3] offset:17664
	ds_read_b64 v[2:3], v14 offset:16896
	ds_read_b64 v[4:5], v118 offset:6144
	s_waitcnt lgkmcnt(0)
	v_pk_add_f32 v[10:11], v[4:5], v[2:3] neg_lo:[0,1] neg_hi:[0,1]
	v_pk_add_f32 v[2:3], v[4:5], v[2:3]
	v_mov_b32_e32 v4, v10
	v_mov_b32_e32 v5, v3
	;; [unrolled: 1-line block ×4, first 2 shown]
	s_waitcnt vmcnt(3)
	v_pk_mul_f32 v[16:17], v[4:5], v[8:9] op_sel:[0,1]
	v_pk_fma_f32 v[4:5], v[4:5], v[8:9], v[12:13] op_sel:[0,1,0]
	v_mov_b32_e32 v12, v3
	v_mov_b32_e32 v13, v10
	;; [unrolled: 1-line block ×4, first 2 shown]
	v_pk_fma_f32 v[18:19], v[8:9], v[12:13], v[4:5] neg_lo:[1,0,0] neg_hi:[1,0,0]
	v_pk_fma_f32 v[4:5], v[8:9], v[12:13], v[4:5] op_sel_hi:[0,1,1]
	v_pk_add_f32 v[2:3], v[2:3], v[16:17] neg_lo:[0,1] neg_hi:[0,1]
	v_mov_b32_e32 v19, v5
	v_pk_fma_f32 v[2:3], v[8:9], v[12:13], v[2:3] op_sel_hi:[0,1,1]
	ds_write_b64 v118, v[18:19] offset:6144
	ds_write_b64 v14, v[2:3] offset:16896
	v_lshl_add_u64 v[10:11], s[2:3], 0, v[70:71]
	ds_read_b64 v[2:3], v14 offset:16128
	ds_read_b64 v[4:5], v118 offset:6912
	global_load_dwordx2 v[10:11], v[10:11], off
	s_mov_b32 s2, 0x3f167918
	s_mov_b32 s15, s2
	s_waitcnt lgkmcnt(0)
	v_pk_add_f32 v[8:9], v[4:5], v[2:3] neg_lo:[0,1] neg_hi:[0,1]
	v_pk_add_f32 v[2:3], v[4:5], v[2:3]
	v_mov_b32_e32 v4, v8
	v_mov_b32_e32 v5, v3
	;; [unrolled: 1-line block ×4, first 2 shown]
	v_pk_mul_f32 v[16:17], v[4:5], v[6:7] op_sel:[0,1]
	v_pk_fma_f32 v[4:5], v[4:5], v[6:7], v[12:13] op_sel:[0,1,0]
	v_mov_b32_e32 v12, v3
	v_mov_b32_e32 v13, v8
	;; [unrolled: 1-line block ×4, first 2 shown]
	v_pk_fma_f32 v[18:19], v[6:7], v[12:13], v[4:5] neg_lo:[1,0,0] neg_hi:[1,0,0]
	v_pk_fma_f32 v[4:5], v[6:7], v[12:13], v[4:5] op_sel_hi:[0,1,1]
	v_pk_add_f32 v[2:3], v[2:3], v[16:17] neg_lo:[0,1] neg_hi:[0,1]
	v_mov_b32_e32 v19, v5
	v_pk_fma_f32 v[2:3], v[6:7], v[12:13], v[2:3] op_sel_hi:[0,1,1]
	ds_write_b64 v118, v[18:19] offset:6912
	ds_write_b64 v14, v[2:3] offset:16128
	ds_read_b64 v[2:3], v14 offset:15360
	ds_read_b64 v[4:5], v118 offset:7680
	s_waitcnt lgkmcnt(0)
	v_pk_add_f32 v[6:7], v[4:5], v[2:3] neg_lo:[0,1] neg_hi:[0,1]
	v_pk_add_f32 v[2:3], v[4:5], v[2:3]
	v_mov_b32_e32 v4, v6
	v_mov_b32_e32 v5, v3
	;; [unrolled: 1-line block ×4, first 2 shown]
	s_waitcnt vmcnt(1)
	v_pk_mul_f32 v[12:13], v[4:5], v[26:27] op_sel:[0,1]
	v_pk_fma_f32 v[4:5], v[4:5], v[26:27], v[8:9] op_sel:[0,1,0]
	v_mov_b32_e32 v8, v3
	v_mov_b32_e32 v9, v6
	;; [unrolled: 1-line block ×4, first 2 shown]
	v_pk_fma_f32 v[16:17], v[26:27], v[8:9], v[4:5] neg_lo:[1,0,0] neg_hi:[1,0,0]
	v_pk_fma_f32 v[4:5], v[26:27], v[8:9], v[4:5] op_sel_hi:[0,1,1]
	v_pk_add_f32 v[2:3], v[2:3], v[12:13] neg_lo:[0,1] neg_hi:[0,1]
	v_mov_b32_e32 v17, v5
	v_pk_fma_f32 v[2:3], v[26:27], v[8:9], v[2:3] op_sel_hi:[0,1,1]
	ds_write_b64 v118, v[16:17] offset:7680
	ds_write_b64 v14, v[2:3] offset:15360
	ds_read_b64 v[2:3], v14 offset:14592
	ds_read_b64 v[4:5], v118 offset:8448
	global_load_dwordx2 v[0:1], v[0:1], off offset:2560
	s_waitcnt lgkmcnt(0)
	v_pk_add_f32 v[6:7], v[4:5], v[2:3] neg_lo:[0,1] neg_hi:[0,1]
	v_pk_add_f32 v[2:3], v[4:5], v[2:3]
	v_mov_b32_e32 v4, v6
	v_mov_b32_e32 v5, v3
	;; [unrolled: 1-line block ×4, first 2 shown]
	v_pk_mul_f32 v[12:13], v[4:5], v[22:23] op_sel:[0,1]
	v_pk_fma_f32 v[4:5], v[4:5], v[22:23], v[8:9] op_sel:[0,1,0]
	v_mov_b32_e32 v8, v3
	v_mov_b32_e32 v9, v6
	;; [unrolled: 1-line block ×4, first 2 shown]
	v_pk_fma_f32 v[16:17], v[22:23], v[8:9], v[4:5] neg_lo:[1,0,0] neg_hi:[1,0,0]
	v_pk_fma_f32 v[4:5], v[22:23], v[8:9], v[4:5] op_sel_hi:[0,1,1]
	v_pk_add_f32 v[2:3], v[2:3], v[12:13] neg_lo:[0,1] neg_hi:[0,1]
	v_mov_b32_e32 v17, v5
	v_pk_fma_f32 v[2:3], v[22:23], v[8:9], v[2:3] op_sel_hi:[0,1,1]
	ds_write_b64 v118, v[16:17] offset:8448
	ds_write_b64 v14, v[2:3] offset:14592
	ds_read_b64 v[2:3], v14 offset:13824
	ds_read_b64 v[4:5], v118 offset:9216
	s_waitcnt lgkmcnt(0)
	v_pk_add_f32 v[6:7], v[4:5], v[2:3] neg_lo:[0,1] neg_hi:[0,1]
	v_pk_add_f32 v[2:3], v[4:5], v[2:3]
	v_mov_b32_e32 v4, v6
	v_mov_b32_e32 v5, v3
	;; [unrolled: 1-line block ×4, first 2 shown]
	s_waitcnt vmcnt(1)
	v_pk_mul_f32 v[12:13], v[4:5], v[10:11] op_sel:[0,1]
	v_pk_fma_f32 v[4:5], v[4:5], v[10:11], v[8:9] op_sel:[0,1,0]
	v_mov_b32_e32 v8, v3
	v_mov_b32_e32 v9, v6
	v_mov_b32_e32 v3, v13
	v_mov_b32_e32 v13, v7
	v_pk_fma_f32 v[16:17], v[10:11], v[8:9], v[4:5] neg_lo:[1,0,0] neg_hi:[1,0,0]
	v_pk_fma_f32 v[4:5], v[10:11], v[8:9], v[4:5] op_sel_hi:[0,1,1]
	v_pk_add_f32 v[2:3], v[2:3], v[12:13] neg_lo:[0,1] neg_hi:[0,1]
	v_mov_b32_e32 v17, v5
	v_pk_fma_f32 v[2:3], v[10:11], v[8:9], v[2:3] op_sel_hi:[0,1,1]
	ds_write_b64 v118, v[16:17] offset:9216
	ds_write_b64 v14, v[2:3] offset:13824
	ds_read_b64 v[2:3], v14 offset:13056
	ds_read_b64 v[4:5], v118 offset:9984
	s_waitcnt lgkmcnt(0)
	v_pk_add_f32 v[6:7], v[4:5], v[2:3] neg_lo:[0,1] neg_hi:[0,1]
	v_pk_add_f32 v[2:3], v[4:5], v[2:3]
	v_mov_b32_e32 v4, v6
	v_mov_b32_e32 v5, v3
	;; [unrolled: 1-line block ×4, first 2 shown]
	v_pk_mul_f32 v[10:11], v[4:5], v[24:25] op_sel:[0,1]
	v_pk_fma_f32 v[4:5], v[4:5], v[24:25], v[8:9] op_sel:[0,1,0]
	v_mov_b32_e32 v8, v3
	v_mov_b32_e32 v9, v6
	v_mov_b32_e32 v3, v11
	v_mov_b32_e32 v11, v7
	v_pk_fma_f32 v[12:13], v[24:25], v[8:9], v[4:5] neg_lo:[1,0,0] neg_hi:[1,0,0]
	v_pk_fma_f32 v[4:5], v[24:25], v[8:9], v[4:5] op_sel_hi:[0,1,1]
	v_pk_add_f32 v[2:3], v[2:3], v[10:11] neg_lo:[0,1] neg_hi:[0,1]
	v_mov_b32_e32 v13, v5
	v_pk_fma_f32 v[2:3], v[24:25], v[8:9], v[2:3] op_sel_hi:[0,1,1]
	ds_write_b64 v118, v[12:13] offset:9984
	ds_write_b64 v14, v[2:3] offset:13056
	ds_read_b64 v[2:3], v14 offset:12288
	ds_read_b64 v[4:5], v118 offset:10752
	s_waitcnt lgkmcnt(0)
	v_pk_add_f32 v[6:7], v[4:5], v[2:3] neg_lo:[0,1] neg_hi:[0,1]
	v_pk_add_f32 v[2:3], v[4:5], v[2:3]
	v_mov_b32_e32 v4, v6
	v_mov_b32_e32 v5, v3
	;; [unrolled: 1-line block ×4, first 2 shown]
	s_waitcnt vmcnt(0)
	v_pk_mul_f32 v[10:11], v[4:5], v[0:1] op_sel:[0,1]
	v_pk_fma_f32 v[4:5], v[4:5], v[0:1], v[8:9] op_sel:[0,1,0]
	v_mov_b32_e32 v8, v3
	v_mov_b32_e32 v9, v6
	v_mov_b32_e32 v3, v11
	v_mov_b32_e32 v11, v7
	v_pk_fma_f32 v[12:13], v[0:1], v[8:9], v[4:5] neg_lo:[1,0,0] neg_hi:[1,0,0]
	v_pk_fma_f32 v[4:5], v[0:1], v[8:9], v[4:5] op_sel_hi:[0,1,1]
	v_pk_add_f32 v[2:3], v[2:3], v[10:11] neg_lo:[0,1] neg_hi:[0,1]
	v_mov_b32_e32 v13, v5
	v_pk_fma_f32 v[0:1], v[0:1], v[8:9], v[2:3] op_sel_hi:[0,1,1]
	ds_write_b64 v118, v[12:13] offset:10752
	ds_write_b64 v14, v[0:1] offset:12288
	s_waitcnt lgkmcnt(0)
	s_barrier
	s_barrier
	ds_read2_b64 v[24:27], v81 offset0:64 offset1:160
	ds_read2_b64 v[28:31], v79 offset0:128 offset1:224
	;; [unrolled: 1-line block ×3, first 2 shown]
	ds_read2_b64 v[36:39], v119 offset1:96
	ds_read2_b64 v[20:23], v118 offset1:96
	s_waitcnt lgkmcnt(3)
	v_pk_add_f32 v[4:5], v[24:25], v[28:29] neg_lo:[0,1] neg_hi:[0,1]
	s_waitcnt lgkmcnt(2)
	v_pk_add_f32 v[0:1], v[28:29], v[32:33]
	s_waitcnt lgkmcnt(1)
	v_pk_add_f32 v[40:41], v[24:25], v[36:37] neg_lo:[0,1] neg_hi:[0,1]
	s_waitcnt lgkmcnt(0)
	v_pk_fma_f32 v[0:1], v[0:1], 0.5, v[20:21] op_sel_hi:[1,0,1] neg_lo:[1,0,0] neg_hi:[1,0,0]
	v_pk_mul_f32 v[2:3], v[40:41], s[6:7] op_sel_hi:[1,0]
	v_pk_add_f32 v[6:7], v[36:37], v[32:33] neg_lo:[0,1] neg_hi:[0,1]
	v_pk_add_f32 v[44:45], v[28:29], v[32:33] neg_lo:[0,1] neg_hi:[0,1]
	v_pk_add_f32 v[84:85], v[4:5], v[6:7]
	v_pk_add_f32 v[42:43], v[0:1], v[2:3] op_sel:[0,1] op_sel_hi:[1,0] neg_lo:[0,1] neg_hi:[0,1]
	v_pk_add_f32 v[0:1], v[0:1], v[2:3] op_sel:[0,1] op_sel_hi:[1,0]
	v_pk_mul_f32 v[2:3], v[44:45], s[2:3] op_sel_hi:[1,0]
	ds_read2_b64 v[4:7], v120 offset1:96
	ds_read2_b64 v[8:11], v123 offset0:64 offset1:160
	ds_read2_b64 v[12:15], v121 offset0:128 offset1:224
	;; [unrolled: 1-line block ×3, first 2 shown]
	v_pk_add_f32 v[86:87], v[0:1], v[2:3] op_sel:[0,1] op_sel_hi:[1,0]
	v_add_u32_e32 v0, 0x400, v118
	v_pk_add_f32 v[88:89], v[42:43], v[2:3] op_sel:[0,1] op_sel_hi:[1,0] neg_lo:[0,1] neg_hi:[0,1]
	ds_read2_b64 v[0:3], v0 offset0:64 offset1:160
	s_waitcnt lgkmcnt(3)
	v_pk_add_f32 v[42:43], v[6:7], v[10:11] neg_lo:[0,1] neg_hi:[0,1]
	s_waitcnt lgkmcnt(1)
	v_pk_add_f32 v[46:47], v[18:19], v[14:15] neg_lo:[0,1] neg_hi:[0,1]
	v_pk_add_f32 v[94:95], v[6:7], v[18:19] neg_lo:[0,1] neg_hi:[0,1]
	v_pk_add_f32 v[90:91], v[42:43], v[46:47]
	v_pk_add_f32 v[42:43], v[10:11], v[14:15]
	v_pk_mul_f32 v[46:47], v[94:95], s[6:7] op_sel_hi:[1,0]
	s_waitcnt lgkmcnt(0)
	v_pk_fma_f32 v[42:43], v[42:43], 0.5, v[2:3] op_sel_hi:[1,0,1] neg_lo:[1,0,0] neg_hi:[1,0,0]
	v_pk_add_f32 v[96:97], v[10:11], v[14:15] neg_lo:[0,1] neg_hi:[0,1]
	v_pk_add_f32 v[48:49], v[42:43], v[46:47] op_sel:[0,1] op_sel_hi:[1,0]
	v_pk_add_f32 v[42:43], v[42:43], v[46:47] op_sel:[0,1] op_sel_hi:[1,0] neg_lo:[0,1] neg_hi:[0,1]
	v_pk_mul_f32 v[46:47], v[96:97], s[2:3] op_sel_hi:[1,0]
	v_pk_mul_f32 v[102:103], v[44:45], s[6:7] op_sel_hi:[1,0]
	v_pk_add_f32 v[48:49], v[46:47], v[48:49] op_sel:[1,0] op_sel_hi:[0,1]
	v_pk_add_f32 v[92:93], v[42:43], v[46:47] op_sel:[0,1] op_sel_hi:[1,0] neg_lo:[0,1] neg_hi:[0,1]
	v_pk_add_f32 v[42:43], v[26:27], v[30:31] neg_lo:[0,1] neg_hi:[0,1]
	v_pk_add_f32 v[46:47], v[38:39], v[34:35] neg_lo:[0,1] neg_hi:[0,1]
	s_mov_b32 s7, s8
	v_pk_add_f32 v[110:111], v[42:43], v[46:47]
	v_pk_add_f32 v[42:43], v[30:31], v[34:35]
	v_pk_add_f32 v[114:115], v[26:27], v[38:39] neg_lo:[0,1] neg_hi:[0,1]
	v_pk_fma_f32 v[42:43], v[42:43], 0.5, v[22:23] op_sel_hi:[1,0,1] neg_lo:[1,0,0] neg_hi:[1,0,0]
	v_pk_mul_f32 v[44:45], v[114:115], s[6:7] op_sel_hi:[1,0]
	v_pk_fma_f32 v[100:101], v[90:91], s[8:9], v[48:49] op_sel_hi:[1,0,1]
	v_pk_add_f32 v[56:57], v[42:43], v[44:45] op_sel:[0,1] op_sel_hi:[1,0] neg_lo:[0,1] neg_hi:[0,1]
	v_pk_add_f32 v[42:43], v[42:43], v[44:45] op_sel:[0,1] op_sel_hi:[1,0]
	v_mov_b32_e32 v44, v88
	v_mov_b32_e32 v45, v87
	v_pk_fma_f32 v[98:99], v[84:85], s[8:9], v[44:45] op_sel_hi:[1,0,1]
	s_mov_b32 s9, s2
	v_mov_b32_e32 v48, v92
	v_pk_fma_f32 v[106:107], v[90:91], s[8:9], v[48:49] op_sel_hi:[1,0,1]
	v_pk_mul_f32 v[104:105], v[40:41], s[2:3] op_sel_hi:[1,0]
	v_pk_mul_f32 v[108:109], v[106:107], s[2:3] op_sel_hi:[1,0]
	s_mov_b32 s3, s10
	v_pk_add_f32 v[130:131], v[30:31], v[34:35] neg_lo:[0,1] neg_hi:[0,1]
	v_add_u32_e32 v88, 0x1c00, v118
	v_pk_mul_f32 v[58:59], v[130:131], s[2:3] op_sel_hi:[1,0]
	s_nop 0
	v_pk_add_f32 v[112:113], v[42:43], v[58:59] op_sel:[0,1] op_sel_hi:[1,0]
	ds_read2_b64 v[44:47], v88 offset0:64 offset1:160
	ds_read2_b64 v[40:43], v128 offset1:96
	ds_read2_b64 v[52:55], v127 offset0:64 offset1:160
	ds_read2_b64 v[48:51], v125 offset0:128 offset1:224
	v_pk_add_f32 v[116:117], v[56:57], v[58:59] op_sel:[0,1] op_sel_hi:[1,0] neg_lo:[0,1] neg_hi:[0,1]
	ds_read2_b64 v[56:59], v126 offset0:128 offset1:224
	s_waitcnt lgkmcnt(3)
	v_pk_add_f32 v[132:133], v[44:45], v[40:41] neg_lo:[0,1] neg_hi:[0,1]
	v_mov_b32_e32 v148, v116
	s_waitcnt lgkmcnt(1)
	v_pk_add_f32 v[134:135], v[48:49], v[52:53] neg_lo:[0,1] neg_hi:[0,1]
	v_pk_add_f32 v[136:137], v[44:45], v[48:49] neg_lo:[0,1] neg_hi:[0,1]
	v_pk_add_f32 v[132:133], v[132:133], v[134:135]
	v_pk_add_f32 v[134:135], v[40:41], v[52:53]
	v_pk_mul_f32 v[138:139], v[136:137], s[6:7] op_sel_hi:[1,0]
	s_waitcnt lgkmcnt(0)
	v_pk_fma_f32 v[134:135], v[134:135], 0.5, v[56:57] op_sel_hi:[1,0,1] neg_lo:[1,0,0] neg_hi:[1,0,0]
	v_mov_b32_e32 v149, v113
	v_pk_add_f32 v[140:141], v[134:135], v[138:139] op_sel:[0,1] op_sel_hi:[1,0]
	v_pk_add_f32 v[134:135], v[134:135], v[138:139] op_sel:[0,1] op_sel_hi:[1,0] neg_lo:[0,1] neg_hi:[0,1]
	v_pk_add_f32 v[138:139], v[40:41], v[52:53] neg_lo:[0,1] neg_hi:[0,1]
	v_pk_fma_f32 v[148:149], v[110:111], s[8:9], v[148:149] op_sel_hi:[1,0,1]
	v_pk_mul_f32 v[142:143], v[138:139], s[2:3] op_sel_hi:[1,0]
	v_mad_u32_u24 v116, v62, s19, v118
	v_pk_add_f32 v[140:141], v[142:143], v[140:141] op_sel:[1,0] op_sel_hi:[0,1]
	v_pk_add_f32 v[134:135], v[134:135], v[142:143] op_sel:[0,1] op_sel_hi:[1,0] neg_lo:[0,1] neg_hi:[0,1]
	v_pk_fma_f32 v[142:143], v[132:133], s[8:9], v[140:141] op_sel_hi:[1,0,1]
	v_mov_b32_e32 v140, v134
	v_pk_fma_f32 v[140:141], v[132:133], s[8:9], v[140:141] op_sel_hi:[1,0,1]
	v_add_u32_e32 v87, 0x1e00, v116
	v_pk_mul_f32 v[144:145], v[140:141], s[2:3] op_sel_hi:[1,0]
	s_nop 0
	v_pk_fma_f32 v[146:147], v[140:141], s[10:11], v[144:145] op_sel:[0,0,1] op_sel_hi:[1,0,0] neg_lo:[0,0,1] neg_hi:[0,0,1]
	v_pk_fma_f32 v[140:141], v[140:141], s[10:11], v[144:145] op_sel:[0,0,1] op_sel_hi:[1,0,0]
	v_pk_add_f32 v[144:145], v[56:57], v[44:45]
	v_mov_b32_e32 v147, v141
	v_pk_add_f32 v[140:141], v[22:23], v[26:27]
	v_pk_add_f32 v[144:145], v[144:145], v[40:41]
	;; [unrolled: 1-line block ×9, first 2 shown]
	s_barrier
	ds_write2_b64 v87, v[150:151], v[152:153] offset1:1
	v_mov_b32_e32 v150, v40
	v_mov_b32_e32 v151, v52
	;; [unrolled: 1-line block ×4, first 2 shown]
	v_pk_add_f32 v[150:151], v[150:151], v[152:153] neg_lo:[0,1] neg_hi:[0,1]
	v_mov_b32_e32 v52, v45
	v_mov_b32_e32 v40, v151
	v_pk_add_f32 v[150:151], v[150:151], v[40:41]
	v_mov_b32_e32 v40, v41
	v_mov_b32_e32 v41, v53
	;; [unrolled: 1-line block ×3, first 2 shown]
	v_pk_add_f32 v[40:41], v[40:41], v[52:53] neg_lo:[0,1] neg_hi:[0,1]
	v_pk_add_f32 v[30:31], v[30:31], v[26:27] neg_lo:[0,1] neg_hi:[0,1]
	v_pk_add_f32 v[26:27], v[26:27], v[38:39]
	v_mov_b32_e32 v52, v41
	v_pk_add_f32 v[44:45], v[44:45], v[48:49]
	v_pk_add_f32 v[34:35], v[34:35], v[38:39] neg_lo:[0,1] neg_hi:[0,1]
	v_pk_fma_f32 v[22:23], v[26:27], 0.5, v[22:23] op_sel_hi:[1,0,1] neg_lo:[1,0,0] neg_hi:[1,0,0]
	v_pk_mul_f32 v[26:27], v[130:131], s[6:7] op_sel_hi:[1,0]
	v_pk_add_f32 v[40:41], v[40:41], v[52:53]
	v_mov_b32_e32 v151, v137
	v_fma_f32 v52, -0.5, v44, v56
	v_pk_add_f32 v[30:31], v[30:31], v[34:35]
	v_pk_add_f32 v[34:35], v[22:23], v[26:27] op_sel:[0,1] op_sel_hi:[1,0]
	v_pk_add_f32 v[22:23], v[22:23], v[26:27] op_sel:[0,1] op_sel_hi:[1,0] neg_lo:[0,1] neg_hi:[0,1]
	v_pk_mul_f32 v[26:27], v[114:115], s[2:3] op_sel_hi:[1,0]
	v_mov_b32_e32 v41, v136
	v_fma_f32 v45, -0.5, v45, v57
	v_fmamk_f32 v44, v139, 0x3f737871, v52
	v_fmac_f32_e32 v52, 0xbf737871, v139
	v_pk_add_f32 v[22:23], v[22:23], v[26:27] op_sel:[0,1] op_sel_hi:[1,0]
	v_pk_add_f32 v[26:27], v[34:35], v[26:27] op_sel:[0,1] op_sel_hi:[1,0] neg_lo:[0,1] neg_hi:[0,1]
	v_pk_mul_f32 v[34:35], v[150:151], s[8:9]
	v_fmamk_f32 v48, v138, 0xbf737871, v45
	v_fmac_f32_e32 v45, 0x3f737871, v138
	v_sub_f32_e32 v44, v44, v35
	v_pk_mul_f32 v[38:39], v[40:41], s[8:9]
	v_add_f32_e32 v35, v35, v52
	v_add_f32_e32 v40, v39, v48
	;; [unrolled: 1-line block ×4, first 2 shown]
	v_sub_f32_e32 v35, v45, v39
	v_add_f32_e32 v40, v38, v40
	v_add_f32_e32 v38, v38, v35
	v_pk_mul_f32 v[40:41], v[40:41], s[6:7] op_sel_hi:[0,1]
	v_pk_mul_f32 v[38:39], v[38:39], s[6:7] op_sel_hi:[0,1]
	v_pk_fma_f32 v[48:49], v[44:45], s[12:13], v[40:41] neg_lo:[0,0,1] neg_hi:[0,0,1]
	v_pk_fma_f32 v[40:41], v[44:45], s[12:13], v[40:41] op_sel_hi:[0,1,1]
	v_pk_fma_f32 v[34:35], v[34:35], s[16:17], v[38:39] op_sel_hi:[0,1,1] neg_lo:[0,0,1] neg_hi:[0,0,1]
	v_mov_b32_e32 v38, v26
	v_mov_b32_e32 v39, v23
	;; [unrolled: 1-line block ×4, first 2 shown]
	v_pk_fma_f32 v[26:27], v[30:31], s[8:9], v[38:39] op_sel_hi:[1,0,1]
	v_pk_fma_f32 v[22:23], v[30:31], s[8:9], v[22:23] op_sel_hi:[1,0,1]
	v_add_u32_e32 v40, 0x1e10, v116
	v_pk_add_f32 v[30:31], v[26:27], v[48:49]
	v_pk_add_f32 v[38:39], v[22:23], v[34:35]
	ds_write2_b64 v40, v[30:31], v[38:39] offset1:1
	v_pk_fma_f32 v[30:31], v[132:133], s[8:9], v[134:135] op_sel_hi:[1,0,1]
	v_mov_b32_e32 v113, v117
	v_pk_mul_f32 v[30:31], v[30:31], s[2:3] op_sel:[1,0]
	v_pk_fma_f32 v[38:39], v[110:111], s[8:9], v[112:113] op_sel_hi:[1,0,1]
	v_pk_fma_f32 v[30:31], v[142:143], s[14:15], v[30:31] op_sel_hi:[0,1,1] neg_lo:[0,0,1] neg_hi:[0,0,1]
	v_pk_add_f32 v[40:41], v[140:141], v[144:145] neg_lo:[0,1] neg_hi:[0,1]
	v_add_u32_e32 v52, 0x1e20, v116
	v_pk_add_f32 v[44:45], v[38:39], v[30:31]
	ds_write2_b64 v52, v[44:45], v[40:41] offset1:1
	v_pk_add_f32 v[40:41], v[148:149], v[146:147] neg_lo:[0,1] neg_hi:[0,1]
	v_pk_add_f32 v[26:27], v[26:27], v[48:49] neg_lo:[0,1] neg_hi:[0,1]
	v_add_u32_e32 v44, 0x1e30, v116
	ds_write2_b64 v44, v[40:41], v[26:27] offset1:1
	v_pk_add_f32 v[26:27], v[20:21], v[24:25]
	v_mov_b32_e32 v87, v89
	v_pk_add_f32 v[26:27], v[26:27], v[28:29]
	v_pk_add_f32 v[28:29], v[28:29], v[24:25] neg_lo:[0,1] neg_hi:[0,1]
	v_pk_add_f32 v[24:25], v[24:25], v[36:37]
	v_pk_add_f32 v[26:27], v[26:27], v[32:33]
	v_pk_add_f32 v[32:33], v[32:33], v[36:37] neg_lo:[0,1] neg_hi:[0,1]
	v_pk_add_f32 v[26:27], v[26:27], v[36:37]
	v_pk_fma_f32 v[20:21], v[24:25], 0.5, v[20:21] op_sel_hi:[1,0,1] neg_lo:[1,0,0] neg_hi:[1,0,0]
	v_pk_fma_f32 v[24:25], v[106:107], s[10:11], v[108:109] op_sel:[0,0,1] op_sel_hi:[1,0,0] neg_lo:[0,0,1] neg_hi:[0,0,1]
	v_pk_fma_f32 v[36:37], v[106:107], s[10:11], v[108:109] op_sel:[0,0,1] op_sel_hi:[1,0,0]
	s_nop 0
	v_mov_b32_e32 v25, v37
	v_pk_add_f32 v[36:37], v[2:3], v[6:7]
	v_pk_add_f32 v[44:45], v[98:99], v[24:25]
	v_pk_add_f32 v[36:37], v[36:37], v[10:11]
	s_nop 0
	v_pk_add_f32 v[36:37], v[36:37], v[14:15]
	s_nop 0
	v_pk_add_f32 v[36:37], v[36:37], v[18:19]
	;; [unrolled: 2-line block ×3, first 2 shown]
	ds_write2_b64 v116, v[40:41], v[44:45] offset1:1
	v_mov_b32_e32 v40, v10
	v_mov_b32_e32 v41, v14
	;; [unrolled: 1-line block ×4, first 2 shown]
	v_pk_add_f32 v[40:41], v[40:41], v[44:45] neg_lo:[0,1] neg_hi:[0,1]
	v_mov_b32_e32 v14, v7
	v_mov_b32_e32 v10, v41
	v_pk_add_f32 v[40:41], v[40:41], v[10:11]
	v_mov_b32_e32 v10, v11
	v_mov_b32_e32 v11, v15
	;; [unrolled: 1-line block ×3, first 2 shown]
	v_pk_add_f32 v[10:11], v[10:11], v[14:15] neg_lo:[0,1] neg_hi:[0,1]
	v_pk_add_f32 v[6:7], v[6:7], v[18:19]
	v_mov_b32_e32 v14, v11
	v_pk_add_f32 v[10:11], v[10:11], v[14:15]
	v_fma_f32 v45, -0.5, v7, v3
	v_mov_b32_e32 v11, v94
	v_mov_b32_e32 v41, v95
	v_fma_f32 v44, -0.5, v6, v2
	v_fmamk_f32 v49, v96, 0xbf737871, v45
	v_fmac_f32_e32 v45, 0x3f737871, v96
	v_pk_mul_f32 v[10:11], v[10:11], s[8:9]
	v_fmamk_f32 v48, v97, 0x3f737871, v44
	v_fmac_f32_e32 v44, 0xbf737871, v97
	v_pk_add_f32 v[6:7], v[20:21], v[102:103] op_sel:[0,1] op_sel_hi:[1,0]
	v_pk_add_f32 v[14:15], v[20:21], v[102:103] op_sel:[0,1] op_sel_hi:[1,0] neg_lo:[0,1] neg_hi:[0,1]
	v_pk_mul_f32 v[18:19], v[40:41], s[8:9]
	v_add_f32_e32 v20, v11, v49
	v_sub_f32_e32 v11, v45, v11
	v_pk_add_f32 v[2:3], v[28:29], v[32:33]
	v_sub_f32_e32 v28, v48, v19
	v_add_f32_e32 v20, v10, v20
	v_add_f32_e32 v19, v19, v44
	;; [unrolled: 1-line block ×3, first 2 shown]
	v_pk_add_f32 v[14:15], v[14:15], v[104:105] op_sel:[0,1] op_sel_hi:[1,0]
	v_pk_add_f32 v[6:7], v[6:7], v[104:105] op_sel:[0,1] op_sel_hi:[1,0] neg_lo:[0,1] neg_hi:[0,1]
	v_pk_mul_f32 v[20:21], v[20:21], s[6:7] op_sel_hi:[0,1]
	v_add_f32_e32 v28, v18, v28
	v_add_f32_e32 v18, v18, v19
	v_pk_mul_f32 v[10:11], v[10:11], s[6:7] op_sel_hi:[0,1]
	v_pk_fma_f32 v[32:33], v[28:29], s[12:13], v[20:21] neg_lo:[0,0,1] neg_hi:[0,0,1]
	v_pk_fma_f32 v[20:21], v[28:29], s[12:13], v[20:21] op_sel_hi:[0,1,1]
	v_pk_fma_f32 v[10:11], v[18:19], s[16:17], v[10:11] op_sel_hi:[0,1,1] neg_lo:[0,0,1] neg_hi:[0,0,1]
	v_mov_b32_e32 v18, v6
	v_mov_b32_e32 v19, v15
	;; [unrolled: 1-line block ×4, first 2 shown]
	v_pk_fma_f32 v[6:7], v[2:3], s[8:9], v[18:19] op_sel_hi:[1,0,1]
	v_pk_fma_f32 v[2:3], v[2:3], s[8:9], v[14:15] op_sel_hi:[1,0,1]
	v_pk_add_f32 v[14:15], v[6:7], v[32:33]
	v_pk_add_f32 v[18:19], v[2:3], v[10:11]
	ds_write2_b64 v116, v[14:15], v[18:19] offset0:2 offset1:3
	v_pk_fma_f32 v[14:15], v[90:91], s[8:9], v[92:93] op_sel_hi:[1,0,1]
	v_pk_fma_f32 v[18:19], v[84:85], s[8:9], v[86:87] op_sel_hi:[1,0,1]
	v_pk_mul_f32 v[14:15], v[14:15], s[2:3] op_sel:[1,0]
	v_pk_add_f32 v[20:21], v[26:27], v[36:37] neg_lo:[0,1] neg_hi:[0,1]
	v_pk_fma_f32 v[14:15], v[100:101], s[14:15], v[14:15] op_sel_hi:[0,1,1] neg_lo:[0,0,1] neg_hi:[0,0,1]
	v_pk_add_f32 v[26:27], v[18:19], v[14:15]
	ds_write2_b64 v116, v[26:27], v[20:21] offset0:4 offset1:5
	v_pk_add_f32 v[20:21], v[98:99], v[24:25] neg_lo:[0,1] neg_hi:[0,1]
	v_pk_add_f32 v[6:7], v[6:7], v[32:33] neg_lo:[0,1] neg_hi:[0,1]
	ds_write2_b64 v116, v[20:21], v[6:7] offset0:6 offset1:7
	v_pk_add_f32 v[2:3], v[2:3], v[10:11] neg_lo:[0,1] neg_hi:[0,1]
	v_pk_add_f32 v[6:7], v[18:19], v[14:15] neg_lo:[0,1] neg_hi:[0,1]
	;; [unrolled: 3-line block ×3, first 2 shown]
	v_add_u32_e32 v10, 0x1e40, v116
	ds_write2_b64 v10, v[2:3], v[6:7] offset1:1
	v_pk_add_f32 v[2:3], v[0:1], v[4:5]
	v_pk_add_f32 v[6:7], v[8:9], v[12:13]
	v_pk_add_f32 v[2:3], v[2:3], v[8:9]
	v_pk_add_f32 v[14:15], v[4:5], v[8:9] neg_lo:[0,1] neg_hi:[0,1]
	v_pk_add_f32 v[18:19], v[4:5], v[16:17] neg_lo:[0,1] neg_hi:[0,1]
	v_pk_add_f32 v[2:3], v[2:3], v[12:13]
	v_pk_add_f32 v[20:21], v[16:17], v[12:13] neg_lo:[0,1] neg_hi:[0,1]
	v_pk_add_f32 v[10:11], v[8:9], v[12:13] neg_lo:[0,1] neg_hi:[0,1]
	;; [unrolled: 1-line block ×3, first 2 shown]
	v_pk_add_f32 v[4:5], v[4:5], v[16:17]
	v_pk_add_f32 v[12:13], v[12:13], v[16:17] neg_lo:[0,1] neg_hi:[0,1]
	v_pk_add_f32 v[2:3], v[2:3], v[16:17]
	v_pk_add_f32 v[16:17], v[46:47], v[50:51]
	;; [unrolled: 1-line block ×4, first 2 shown]
	v_pk_fma_f32 v[6:7], v[6:7], 0.5, v[0:1] op_sel_hi:[1,0,1] neg_lo:[1,0,0] neg_hi:[1,0,0]
	v_pk_mul_f32 v[20:21], v[18:19], s[6:7] op_sel_hi:[1,0]
	v_pk_add_f32 v[28:29], v[46:47], v[50:51] neg_lo:[0,1] neg_hi:[0,1]
	v_fma_f32 v48, -0.5, v16, v58
	v_fma_f32 v49, -0.5, v17, v59
	v_pk_fma_f32 v[16:17], v[36:37], 0.5, v[58:59] op_sel_hi:[1,0,1] neg_lo:[1,0,0] neg_hi:[1,0,0]
	v_pk_add_f32 v[36:37], v[6:7], v[20:21] op_sel:[0,1] op_sel_hi:[1,0] neg_lo:[0,1] neg_hi:[0,1]
	v_pk_add_f32 v[6:7], v[6:7], v[20:21] op_sel:[0,1] op_sel_hi:[1,0]
	v_pk_mul_f32 v[20:21], v[10:11], s[2:3] op_sel_hi:[1,0]
	v_pk_add_f32 v[30:31], v[46:47], v[42:43] neg_lo:[0,1] neg_hi:[0,1]
	v_pk_add_f32 v[38:39], v[42:43], v[54:55] neg_lo:[0,1] neg_hi:[0,1]
	;; [unrolled: 1-line block ×3, first 2 shown]
	v_pk_add_f32 v[6:7], v[6:7], v[20:21] op_sel:[0,1] op_sel_hi:[1,0]
	v_pk_add_f32 v[20:21], v[36:37], v[20:21] op_sel:[0,1] op_sel_hi:[1,0] neg_lo:[0,1] neg_hi:[0,1]
	v_pk_mul_f32 v[36:37], v[28:29], s[6:7] op_sel_hi:[1,0]
	v_pk_add_f32 v[30:31], v[30:31], v[40:41]
	v_pk_add_f32 v[40:41], v[16:17], v[36:37] op_sel:[0,1] op_sel_hi:[1,0]
	v_pk_add_f32 v[16:17], v[16:17], v[36:37] op_sel:[0,1] op_sel_hi:[1,0] neg_lo:[0,1] neg_hi:[0,1]
	v_pk_mul_f32 v[36:37], v[38:39], s[2:3] op_sel_hi:[1,0]
	v_pk_add_f32 v[24:25], v[58:59], v[46:47]
	v_pk_add_f32 v[40:41], v[36:37], v[40:41] op_sel:[1,0] op_sel_hi:[0,1]
	v_pk_add_f32 v[16:17], v[16:17], v[36:37] op_sel:[0,1] op_sel_hi:[1,0] neg_lo:[0,1] neg_hi:[0,1]
	v_pk_fma_f32 v[36:37], v[30:31], s[8:9], v[40:41] op_sel_hi:[1,0,1]
	v_mov_b32_e32 v40, v16
	v_pk_fma_f32 v[40:41], v[30:31], s[8:9], v[40:41] op_sel_hi:[1,0,1]
	v_pk_add_f32 v[24:25], v[24:25], v[42:43]
	v_mov_b32_e32 v32, v42
	v_mov_b32_e32 v34, v43
	v_pk_mul_f32 v[42:43], v[40:41], s[2:3] op_sel_hi:[1,0]
	v_mov_b32_e32 v22, v46
	v_mov_b32_e32 v33, v54
	;; [unrolled: 1-line block ×3, first 2 shown]
	v_pk_fma_f32 v[44:45], v[40:41], s[10:11], v[42:43] op_sel:[0,0,1] op_sel_hi:[1,0,0] neg_lo:[0,0,1] neg_hi:[0,0,1]
	v_pk_fma_f32 v[40:41], v[40:41], s[10:11], v[42:43] op_sel:[0,0,1] op_sel_hi:[1,0,0]
	v_mov_b32_e32 v26, v47
	v_pk_add_f32 v[24:25], v[24:25], v[54:55]
	v_mov_b32_e32 v35, v55
	v_mov_b32_e32 v27, v51
	v_mul_u32_u24_e32 v40, 10, v82
	v_pk_fma_f32 v[0:1], v[4:5], 0.5, v[0:1] op_sel_hi:[1,0,1] neg_lo:[1,0,0] neg_hi:[1,0,0]
	v_pk_add_f32 v[4:5], v[32:33], v[22:23] neg_lo:[0,1] neg_hi:[0,1]
	v_pk_add_f32 v[24:25], v[24:25], v[50:51]
	v_lshl_add_u32 v50, v40, 3, 0
	v_mov_b32_e32 v40, v20
	v_mov_b32_e32 v20, v5
	v_pk_add_f32 v[22:23], v[34:35], v[26:27] neg_lo:[0,1] neg_hi:[0,1]
	v_pk_add_f32 v[4:5], v[4:5], v[20:21]
	v_mov_b32_e32 v20, v23
	v_pk_add_f32 v[22:23], v[22:23], v[20:21]
	v_mov_b32_e32 v5, v29
	v_pk_mul_f32 v[10:11], v[10:11], s[6:7] op_sel_hi:[1,0]
	v_mov_b32_e32 v45, v41
	v_mov_b32_e32 v41, v7
	;; [unrolled: 1-line block ×3, first 2 shown]
	v_fmamk_f32 v7, v39, 0x3f737871, v48
	v_fmac_f32_e32 v48, 0xbf737871, v39
	v_pk_add_f32 v[8:9], v[8:9], v[12:13]
	v_pk_add_f32 v[12:13], v[0:1], v[10:11] op_sel:[0,1] op_sel_hi:[1,0]
	v_pk_add_f32 v[0:1], v[0:1], v[10:11] op_sel:[0,1] op_sel_hi:[1,0] neg_lo:[0,1] neg_hi:[0,1]
	v_pk_mul_f32 v[10:11], v[18:19], s[2:3] op_sel_hi:[1,0]
	v_pk_mul_f32 v[4:5], v[4:5], s[8:9]
	v_fmamk_f32 v20, v38, 0xbf737871, v49
	v_fmac_f32_e32 v49, 0x3f737871, v38
	v_pk_add_f32 v[0:1], v[0:1], v[10:11] op_sel:[0,1] op_sel_hi:[1,0]
	v_pk_add_f32 v[10:11], v[12:13], v[10:11] op_sel:[0,1] op_sel_hi:[1,0] neg_lo:[0,1] neg_hi:[0,1]
	v_sub_f32_e32 v7, v7, v5
	v_pk_mul_f32 v[12:13], v[22:23], s[8:9]
	v_add_f32_e32 v5, v5, v48
	v_add_f32_e32 v18, v13, v20
	;; [unrolled: 1-line block ×4, first 2 shown]
	v_sub_f32_e32 v5, v49, v13
	v_add_f32_e32 v18, v12, v18
	v_add_f32_e32 v12, v12, v5
	v_pk_mul_f32 v[18:19], v[18:19], s[6:7] op_sel_hi:[0,1]
	v_pk_mul_f32 v[12:13], v[12:13], s[6:7] op_sel_hi:[0,1]
	v_pk_fma_f32 v[22:23], v[20:21], s[12:13], v[18:19] neg_lo:[0,0,1] neg_hi:[0,0,1]
	v_pk_fma_f32 v[18:19], v[20:21], s[12:13], v[18:19] op_sel_hi:[0,1,1]
	v_pk_fma_f32 v[4:5], v[4:5], s[16:17], v[12:13] op_sel_hi:[0,1,1] neg_lo:[0,0,1] neg_hi:[0,0,1]
	v_mov_b32_e32 v12, v10
	v_mov_b32_e32 v13, v1
	;; [unrolled: 1-line block ×4, first 2 shown]
	v_pk_fma_f32 v[10:11], v[8:9], s[8:9], v[12:13] op_sel_hi:[1,0,1]
	v_pk_fma_f32 v[0:1], v[8:9], s[8:9], v[0:1] op_sel_hi:[1,0,1]
	v_pk_add_f32 v[8:9], v[10:11], v[22:23]
	v_pk_add_f32 v[12:13], v[0:1], v[4:5]
	ds_write2_b64 v50, v[8:9], v[12:13] offset0:2 offset1:3
	v_pk_fma_f32 v[8:9], v[30:31], s[8:9], v[16:17] op_sel_hi:[1,0,1]
	v_mov_b32_e32 v7, v21
	v_pk_mul_f32 v[8:9], v[8:9], s[2:3] op_sel:[1,0]
	v_pk_fma_f32 v[6:7], v[14:15], s[8:9], v[6:7] op_sel_hi:[1,0,1]
	v_pk_fma_f32 v[8:9], v[36:37], s[14:15], v[8:9] op_sel_hi:[0,1,1] neg_lo:[0,0,1] neg_hi:[0,0,1]
	v_pk_fma_f32 v[42:43], v[14:15], s[8:9], v[40:41] op_sel_hi:[1,0,1]
	v_pk_add_f32 v[40:41], v[2:3], v[24:25]
	v_pk_add_f32 v[2:3], v[2:3], v[24:25] neg_lo:[0,1] neg_hi:[0,1]
	v_pk_add_f32 v[12:13], v[6:7], v[8:9]
	ds_write2_b64 v50, v[12:13], v[2:3] offset0:4 offset1:5
	v_pk_add_f32 v[2:3], v[42:43], v[44:45] neg_lo:[0,1] neg_hi:[0,1]
	v_pk_add_f32 v[10:11], v[10:11], v[22:23] neg_lo:[0,1] neg_hi:[0,1]
	ds_write2_b64 v50, v[2:3], v[10:11] offset0:6 offset1:7
	v_pk_add_f32 v[0:1], v[0:1], v[4:5] neg_lo:[0,1] neg_hi:[0,1]
	v_pk_add_f32 v[2:3], v[6:7], v[8:9] neg_lo:[0,1] neg_hi:[0,1]
	s_mov_b32 s2, 0xcccd
	v_pk_add_f32 v[46:47], v[42:43], v[44:45]
	ds_write2_b64 v50, v[0:1], v[2:3] offset0:8 offset1:9
	v_mul_u32_u24_sdwa v2, v82, s2 dst_sel:DWORD dst_unused:UNUSED_PAD src0_sel:WORD_0 src1_sel:DWORD
	ds_write2_b64 v50, v[40:41], v[46:47] offset1:1
	v_lshrrev_b32_e32 v47, 19, v2
	s_mov_b32 s10, 0xffff
	v_mov_b32_e32 v0, 0x180
	v_mul_lo_u16_e32 v2, 10, v47
	v_bitop3_b32 v42, v62, s10, v0 bitop3:0xc8
	v_sub_u16_e32 v49, v82, v2
	v_mul_u32_u24_e32 v0, 0xcccd, v42
	v_mul_u32_u24_e32 v2, 5, v49
	v_lshrrev_b32_e32 v45, 19, v0
	v_lshlrev_b32_e32 v5, 3, v2
	v_mul_u32_u24_sdwa v2, v72, s2 dst_sel:DWORD dst_unused:UNUSED_PAD src0_sel:WORD_0 src1_sel:DWORD
	v_or_b32_e32 v40, 0x180, v62
	v_mul_lo_u16_e32 v0, 10, v45
	v_lshrrev_b32_e32 v50, 19, v2
	v_sub_u16_e32 v46, v40, v0
	v_mul_lo_u16_e32 v2, 10, v50
	v_mul_u32_u24_e32 v0, 5, v46
	v_sub_u16_e32 v48, v72, v2
	s_movk_i32 s2, 0xcd
	v_add_u16_e32 v43, 0x60, v62
	v_lshlrev_b32_e32 v4, 3, v0
	v_mul_u32_u24_e32 v2, 5, v48
	v_mul_lo_u16_sdwa v7, v43, s2 dst_sel:DWORD dst_unused:UNUSED_PAD src0_sel:BYTE_0 src1_sel:DWORD
	s_waitcnt lgkmcnt(0)
	s_barrier
	global_load_dwordx2 v[0:1], v4, s[4:5] offset:32
	v_lshlrev_b32_e32 v6, 3, v2
	global_load_dwordx2 v[2:3], v6, s[4:5] offset:32
	v_lshrrev_b16_e32 v51, 11, v7
	v_mul_lo_u16_e32 v7, 10, v51
	v_sub_u16_e32 v89, v43, v7
	v_mov_b32_e32 v44, 5
	v_mul_u32_u24_sdwa v7, v89, v44 dst_sel:DWORD dst_unused:UNUSED_PAD src0_sel:BYTE_0 src1_sel:DWORD
	v_lshlrev_b32_e32 v18, 3, v7
	global_load_dwordx2 v[12:13], v5, s[4:5] offset:32
	global_load_dwordx2 v[20:21], v18, s[4:5] offset:32
	v_mul_lo_u16_sdwa v7, v62, s2 dst_sel:DWORD dst_unused:UNUSED_PAD src0_sel:BYTE_0 src1_sel:DWORD
	v_lshrrev_b16_e32 v41, 11, v7
	v_mul_lo_u16_e32 v7, 10, v41
	v_sub_u16_e32 v129, v62, v7
	v_mul_u32_u24_sdwa v7, v129, v44 dst_sel:DWORD dst_unused:UNUSED_PAD src0_sel:BYTE_0 src1_sel:DWORD
	v_lshlrev_b32_e32 v34, 3, v7
	global_load_dwordx2 v[32:33], v34, s[4:5] offset:32
	global_load_dwordx4 v[14:17], v4, s[4:5] offset:16
	global_load_dwordx4 v[24:27], v6, s[4:5] offset:16
	;; [unrolled: 1-line block ×5, first 2 shown]
	global_load_dwordx4 v[90:93], v4, s[4:5]
	global_load_dwordx4 v[94:97], v6, s[4:5]
	;; [unrolled: 1-line block ×5, first 2 shown]
	ds_read2_b64 v[8:11], v125 offset0:128 offset1:224
	ds_read2_b64 v[28:31], v124 offset0:64 offset1:160
	s_mov_b32 s2, 0x3f5db3d7
	s_mov_b32 s6, 0.5
	s_mov_b32 s7, s2
	s_mov_b32 s8, -0.5
	s_mov_b32 s9, s2
	s_mov_b32 s12, 0x5040100
	s_waitcnt vmcnt(14) lgkmcnt(1)
	v_pk_mul_f32 v[6:7], v[10:11], v[0:1] op_sel:[0,1]
	s_nop 0
	v_pk_fma_f32 v[4:5], v[10:11], v[0:1], v[6:7] op_sel:[0,0,1] op_sel_hi:[1,1,0]
	v_pk_fma_f32 v[6:7], v[10:11], v[0:1], v[6:7] op_sel:[0,0,1] op_sel_hi:[1,0,0] neg_lo:[0,0,1] neg_hi:[0,0,1]
	s_waitcnt vmcnt(13)
	v_pk_mul_f32 v[0:1], v[8:9], v[2:3] op_sel:[0,1]
	s_waitcnt vmcnt(8)
	v_mov_b32_e32 v6, v27
	v_pk_fma_f32 v[18:19], v[8:9], v[2:3], v[0:1] op_sel:[0,0,1] op_sel_hi:[1,1,0]
	v_pk_fma_f32 v[22:23], v[8:9], v[2:3], v[0:1] op_sel:[0,0,1] op_sel_hi:[1,0,0] neg_lo:[0,0,1] neg_hi:[0,0,1]
	ds_read2_b64 v[0:3], v119 offset1:96
	s_waitcnt lgkmcnt(1)
	v_pk_mul_f32 v[8:9], v[30:31], v[12:13] op_sel:[0,1]
	v_mov_b32_e32 v19, v23
	v_pk_fma_f32 v[38:39], v[30:31], v[12:13], v[8:9] op_sel:[0,0,1] op_sel_hi:[1,1,0]
	v_pk_fma_f32 v[110:111], v[30:31], v[12:13], v[8:9] op_sel:[0,0,1] op_sel_hi:[1,0,0] neg_lo:[0,0,1] neg_hi:[0,0,1]
	v_pk_mul_f32 v[8:9], v[28:29], v[20:21] op_sel:[0,1]
	v_mov_b32_e32 v39, v111
	v_pk_fma_f32 v[112:113], v[28:29], v[20:21], v[8:9] op_sel:[0,0,1] op_sel_hi:[1,1,0]
	v_pk_fma_f32 v[114:115], v[28:29], v[20:21], v[8:9] op_sel:[0,0,1] op_sel_hi:[1,0,0] neg_lo:[0,0,1] neg_hi:[0,0,1]
	ds_read2_b64 v[28:31], v122 offset0:64 offset1:160
	s_waitcnt lgkmcnt(1)
	v_pk_mul_f32 v[8:9], v[2:3], v[32:33] op_sel:[0,1]
	v_mov_b32_e32 v113, v115
	v_pk_fma_f32 v[116:117], v[2:3], v[32:33], v[8:9] op_sel:[0,0,1] op_sel_hi:[1,1,0]
	v_pk_fma_f32 v[130:131], v[2:3], v[32:33], v[8:9] op_sel:[0,0,1] op_sel_hi:[1,0,0] neg_lo:[0,0,1] neg_hi:[0,0,1]
	v_mov_b32_e32 v2, v17
	v_pk_mul_f32 v[2:3], v[0:1], v[2:3] op_sel_hi:[1,0]
	v_mov_b32_e32 v117, v131
	v_pk_fma_f32 v[8:9], v[0:1], v[16:17], v[2:3] op_sel:[0,0,1] op_sel_hi:[1,1,0]
	v_pk_fma_f32 v[12:13], v[0:1], v[16:17], v[2:3] op_sel:[0,0,1] op_sel_hi:[1,0,0] neg_lo:[0,0,1] neg_hi:[0,0,1]
	s_waitcnt lgkmcnt(0)
	v_pk_mul_f32 v[0:1], v[30:31], v[14:15] op_sel:[0,1]
	s_nop 0
	v_pk_fma_f32 v[10:11], v[30:31], v[14:15], v[0:1] op_sel:[0,0,1] op_sel_hi:[1,1,0]
	v_pk_fma_f32 v[16:17], v[30:31], v[14:15], v[0:1] op_sel:[0,0,1] op_sel_hi:[1,0,0] neg_lo:[0,0,1] neg_hi:[0,0,1]
	ds_read2_b64 v[0:3], v127 offset0:64 offset1:160
	v_pk_mul_f32 v[14:15], v[28:29], v[24:25] op_sel:[0,1]
	v_mov_b32_e32 v11, v17
	v_pk_fma_f32 v[30:31], v[28:29], v[24:25], v[14:15] op_sel:[0,0,1] op_sel_hi:[1,1,0]
	v_pk_fma_f32 v[34:35], v[28:29], v[24:25], v[14:15] op_sel:[0,0,1] op_sel_hi:[1,0,0] neg_lo:[0,0,1] neg_hi:[0,0,1]
	s_waitcnt lgkmcnt(0)
	v_pk_mul_f32 v[14:15], v[2:3], v[6:7] op_sel_hi:[1,0]
	s_waitcnt vmcnt(6)
	v_mov_b32_e32 v6, v59
	v_pk_fma_f32 v[28:29], v[2:3], v[26:27], v[14:15] op_sel:[0,0,1] op_sel_hi:[1,1,0]
	v_pk_fma_f32 v[36:37], v[2:3], v[26:27], v[14:15] op_sel:[0,0,1] op_sel_hi:[1,0,0] neg_lo:[0,0,1] neg_hi:[0,0,1]
	ds_read2_b64 v[24:27], v128 offset1:96
	v_mov_b32_e32 v2, v55
	v_pk_mul_f32 v[2:3], v[0:1], v[2:3] op_sel_hi:[1,0]
	v_mov_b32_e32 v31, v35
	v_pk_fma_f32 v[132:133], v[0:1], v[54:55], v[2:3] op_sel:[0,0,1] op_sel_hi:[1,1,0]
	v_pk_fma_f32 v[134:135], v[0:1], v[54:55], v[2:3] op_sel:[0,0,1] op_sel_hi:[1,0,0] neg_lo:[0,0,1] neg_hi:[0,0,1]
	s_waitcnt lgkmcnt(0)
	v_pk_mul_f32 v[0:1], v[26:27], v[52:53] op_sel:[0,1]
	v_pk_mul_f32 v[14:15], v[24:25], v[56:57] op_sel:[0,1]
	v_pk_fma_f32 v[136:137], v[26:27], v[52:53], v[0:1] op_sel:[0,0,1] op_sel_hi:[1,1,0]
	v_pk_fma_f32 v[138:139], v[26:27], v[52:53], v[0:1] op_sel:[0,0,1] op_sel_hi:[1,0,0] neg_lo:[0,0,1] neg_hi:[0,0,1]
	ds_read2_b64 v[0:3], v121 offset0:128 offset1:224
	v_pk_fma_f32 v[140:141], v[24:25], v[56:57], v[14:15] op_sel:[0,0,1] op_sel_hi:[1,1,0]
	v_pk_fma_f32 v[56:57], v[24:25], v[56:57], v[14:15] op_sel:[0,0,1] op_sel_hi:[1,0,0] neg_lo:[0,0,1] neg_hi:[0,0,1]
	ds_read2_b64 v[24:27], v123 offset0:64 offset1:160
	ds_read2_b64 v[52:55], v79 offset0:128 offset1:224
	s_waitcnt lgkmcnt(2)
	v_pk_mul_f32 v[14:15], v[2:3], v[6:7] op_sel_hi:[1,0]
	s_waitcnt vmcnt(4)
	v_mov_b32_e32 v6, v93
	v_pk_fma_f32 v[142:143], v[2:3], v[58:59], v[14:15] op_sel:[0,0,1] op_sel_hi:[1,1,0]
	v_pk_fma_f32 v[58:59], v[2:3], v[58:59], v[14:15] op_sel:[0,0,1] op_sel_hi:[1,0,0] neg_lo:[0,0,1] neg_hi:[0,0,1]
	v_mov_b32_e32 v2, v87
	v_pk_mul_f32 v[2:3], v[0:1], v[2:3] op_sel_hi:[1,0]
	s_waitcnt lgkmcnt(1)
	v_pk_mul_f32 v[14:15], v[24:25], v[6:7] op_sel_hi:[1,0]
	v_pk_fma_f32 v[144:145], v[0:1], v[86:87], v[2:3] op_sel:[0,0,1] op_sel_hi:[1,1,0]
	v_pk_fma_f32 v[86:87], v[0:1], v[86:87], v[2:3] op_sel:[0,0,1] op_sel_hi:[1,0,0] neg_lo:[0,0,1] neg_hi:[0,0,1]
	v_pk_mul_f32 v[0:1], v[26:27], v[84:85] op_sel:[0,1]
	v_pk_fma_f32 v[20:21], v[24:25], v[92:93], v[14:15] op_sel:[0,0,1] op_sel_hi:[1,1,0]
	v_pk_fma_f32 v[146:147], v[26:27], v[84:85], v[0:1] op_sel:[0,0,1] op_sel_hi:[1,1,0]
	v_pk_fma_f32 v[84:85], v[26:27], v[84:85], v[0:1] op_sel:[0,0,1] op_sel_hi:[1,0,0] neg_lo:[0,0,1] neg_hi:[0,0,1]
	ds_read2_b64 v[0:3], v120 offset1:96
	v_pk_fma_f32 v[26:27], v[24:25], v[92:93], v[14:15] op_sel:[0,0,1] op_sel_hi:[1,0,0] neg_lo:[0,0,1] neg_hi:[0,0,1]
	s_waitcnt vmcnt(2)
	v_mov_b32_e32 v6, v101
	v_mov_b32_e32 v147, v85
	;; [unrolled: 1-line block ×3, first 2 shown]
	s_waitcnt lgkmcnt(0)
	v_pk_mul_f32 v[14:15], v[2:3], v[90:91] op_sel:[0,1]
	v_pk_add_f32 v[84:85], v[146:147], v[116:117]
	v_pk_fma_f32 v[24:25], v[2:3], v[90:91], v[14:15] op_sel:[0,0,1] op_sel_hi:[1,0,0]
	v_pk_fma_f32 v[14:15], v[2:3], v[90:91], v[14:15] op_sel:[0,0,1] op_sel_hi:[1,0,0] neg_lo:[0,0,1] neg_hi:[0,0,1]
	v_pk_mul_f32 v[2:3], v[0:1], v[94:95] op_sel:[0,1]
	v_pk_add_f32 v[86:87], v[146:147], v[116:117] neg_lo:[0,1] neg_hi:[0,1]
	v_pk_fma_f32 v[90:91], v[0:1], v[94:95], v[2:3] op_sel:[0,0,1] op_sel_hi:[1,0,0]
	v_pk_fma_f32 v[32:33], v[0:1], v[94:95], v[2:3] op_sel:[0,0,1] op_sel_hi:[1,0,0] neg_lo:[0,0,1] neg_hi:[0,0,1]
	v_mov_b32_e32 v0, v97
	v_pk_mul_f32 v[0:1], v[54:55], v[0:1] op_sel_hi:[1,0]
	v_mov_b32_e32 v143, v59
	v_pk_fma_f32 v[92:93], v[54:55], v[96:97], v[0:1] op_sel:[0,0,1] op_sel_hi:[1,1,0]
	v_pk_fma_f32 v[94:95], v[54:55], v[96:97], v[0:1] op_sel:[0,0,1] op_sel_hi:[1,0,0] neg_lo:[0,0,1] neg_hi:[0,0,1]
	ds_read2_b64 v[0:3], v81 offset0:64 offset1:160
	v_pk_mul_f32 v[54:55], v[52:53], v[6:7] op_sel_hi:[1,0]
	s_waitcnt vmcnt(0)
	v_mov_b32_e32 v6, v109
	v_pk_fma_f32 v[96:97], v[52:53], v[100:101], v[54:55] op_sel:[0,0,1] op_sel_hi:[1,1,0]
	v_pk_fma_f32 v[100:101], v[52:53], v[100:101], v[54:55] op_sel:[0,0,1] op_sel_hi:[1,0,0] neg_lo:[0,0,1] neg_hi:[0,0,1]
	s_waitcnt lgkmcnt(0)
	v_pk_mul_f32 v[52:53], v[2:3], v[98:99] op_sel:[0,1]
	v_mov_b32_e32 v141, v57
	v_pk_fma_f32 v[148:149], v[2:3], v[98:99], v[52:53] op_sel:[0,0,1] op_sel_hi:[1,0,0]
	v_pk_fma_f32 v[98:99], v[2:3], v[98:99], v[52:53] op_sel:[0,0,1] op_sel_hi:[1,0,0] neg_lo:[0,0,1] neg_hi:[0,0,1]
	ds_read2_b64 v[52:55], v88 offset0:64 offset1:160
	v_pk_mul_f32 v[2:3], v[0:1], v[102:103] op_sel:[0,1]
	v_pk_add_f32 v[56:57], v[140:141], v[112:113] neg_lo:[0,1] neg_hi:[0,1]
	v_pk_fma_f32 v[150:151], v[0:1], v[102:103], v[2:3] op_sel:[0,0,1] op_sel_hi:[1,0,0]
	v_pk_fma_f32 v[102:103], v[0:1], v[102:103], v[2:3] op_sel:[0,0,1] op_sel_hi:[1,0,0] neg_lo:[0,0,1] neg_hi:[0,0,1]
	v_mov_b32_e32 v0, v105
	s_waitcnt lgkmcnt(0)
	v_pk_mul_f32 v[0:1], v[54:55], v[0:1] op_sel_hi:[1,0]
	v_mov_b32_e32 v151, v103
	v_pk_fma_f32 v[152:153], v[54:55], v[104:105], v[0:1] op_sel:[0,0,1] op_sel_hi:[1,1,0]
	v_pk_fma_f32 v[104:105], v[54:55], v[104:105], v[0:1] op_sel:[0,0,1] op_sel_hi:[1,0,0] neg_lo:[0,0,1] neg_hi:[0,0,1]
	ds_read2_b64 v[0:3], v126 offset0:128 offset1:224
	v_pk_mul_f32 v[54:55], v[52:53], v[6:7] op_sel_hi:[1,0]
	v_mov_b32_e32 v153, v105
	v_pk_fma_f32 v[154:155], v[52:53], v[108:109], v[54:55] op_sel:[0,0,1] op_sel_hi:[1,1,0]
	v_pk_fma_f32 v[52:53], v[52:53], v[108:109], v[54:55] op_sel:[0,0,1] op_sel_hi:[1,0,0] neg_lo:[0,0,1] neg_hi:[0,0,1]
	s_waitcnt lgkmcnt(0)
	v_pk_mul_f32 v[54:55], v[106:107], v[2:3] op_sel:[0,1]
	v_mov_b32_e32 v155, v53
	v_pk_fma_f32 v[108:109], v[106:107], v[2:3], v[54:55] op_sel:[0,0,1] op_sel_hi:[1,0,0]
	v_pk_fma_f32 v[2:3], v[106:107], v[2:3], v[54:55] op_sel:[0,0,1] op_sel_hi:[1,0,0] neg_lo:[1,0,0] neg_hi:[1,0,0]
	ds_read2_b64 v[52:55], v118 offset1:96
	v_mov_b32_e32 v109, v3
	v_pk_add_f32 v[106:107], v[108:109], v[146:147]
	v_fmac_f32_e32 v3, -0.5, v85
	v_pk_add_f32 v[106:107], v[106:107], v[116:117]
	v_pk_add_f32 v[116:117], v[154:155], v[144:145]
	v_pk_add_f32 v[130:131], v[154:155], v[144:145] neg_lo:[0,1] neg_hi:[0,1]
	v_fmac_f32_e32 v108, -0.5, v84
	s_waitcnt lgkmcnt(0)
	v_pk_add_f32 v[84:85], v[52:53], v[154:155]
	v_pk_fma_f32 v[52:53], v[116:117], 0.5, v[52:53] op_sel_hi:[1,0,1] neg_lo:[1,0,0] neg_hi:[1,0,0]
	v_pk_mul_f32 v[116:117], v[130:131], s[2:3] op_sel_hi:[1,0]
	s_mov_b32 s3, s6
	v_fmamk_f32 v2, v86, 0x3f5db3d7, v3
	v_pk_add_f32 v[130:131], v[52:53], v[116:117] op_sel:[0,1] op_sel_hi:[1,0] neg_lo:[0,1] neg_hi:[0,1]
	v_pk_add_f32 v[52:53], v[52:53], v[116:117] op_sel:[0,1] op_sel_hi:[1,0]
	v_pk_mul_f32 v[116:117], v[2:3], s[2:3] op_sel_hi:[0,1]
	v_fmamk_f32 v2, v87, 0xbf5db3d7, v108
	v_pk_add_f32 v[84:85], v[84:85], v[144:145]
	v_pk_fma_f32 v[144:145], v[2:3], s[6:7], v[116:117] neg_lo:[0,0,1] neg_hi:[0,0,1]
	v_pk_fma_f32 v[116:117], v[2:3], s[6:7], v[116:117] op_sel_hi:[0,1,1]
	v_mul_u32_u24_e32 v2, 0x1e0, v41
	v_mov_b32_e32 v41, 3
	v_lshlrev_b32_sdwa v5, v41, v129 dst_sel:DWORD dst_unused:UNUSED_PAD src0_sel:DWORD src1_sel:BYTE_0
	v_fmac_f32_e32 v3, 0xbf5db3d7, v86
	v_add3_u32 v5, 0, v2, v5
	v_mov_b32_e32 v2, v3
	v_fmac_f32_e32 v108, 0x3f5db3d7, v87
	v_pk_mul_f32 v[2:3], v[2:3], s[2:3] op_sel_hi:[0,1]
	v_mov_b32_e32 v155, v53
	v_pk_fma_f32 v[2:3], v[108:109], s[8:9], v[2:3] op_sel_hi:[0,1,1] neg_lo:[0,0,1] neg_hi:[0,0,1]
	v_mov_b32_e32 v53, v131
	v_mov_b32_e32 v145, v117
	v_mov_b32_e32 v154, v130
	v_pk_add_f32 v[156:157], v[84:85], v[106:107]
	v_pk_add_f32 v[84:85], v[84:85], v[106:107] neg_lo:[0,1] neg_hi:[0,1]
	v_pk_add_f32 v[86:87], v[52:53], v[2:3]
	ds_read_b64 v[116:117], v83
	ds_read_b64 v[146:147], v73
	s_waitcnt lgkmcnt(0)
	s_barrier
	ds_write2_b64 v5, v[86:87], v[84:85] offset0:20 offset1:30
	v_pk_add_f32 v[84:85], v[154:155], v[144:145] neg_lo:[0,1] neg_hi:[0,1]
	v_pk_add_f32 v[2:3], v[52:53], v[2:3] neg_lo:[0,1] neg_hi:[0,1]
	ds_write2_b64 v5, v[84:85], v[2:3] offset0:40 offset1:50
	v_pk_add_f32 v[2:3], v[152:153], v[142:143]
	v_pk_add_f32 v[52:53], v[54:55], v[152:153]
	v_pk_fma_f32 v[2:3], v[2:3], 0.5, v[54:55] op_sel_hi:[1,0,1] neg_lo:[1,0,0] neg_hi:[1,0,0]
	v_pk_add_f32 v[54:55], v[140:141], v[112:113]
	v_pk_add_f32 v[58:59], v[150:151], v[140:141]
	v_fmac_f32_e32 v150, -0.5, v54
	v_fmac_f32_e32 v103, -0.5, v55
	v_pk_add_f32 v[54:55], v[152:153], v[142:143] neg_lo:[0,1] neg_hi:[0,1]
	v_fmamk_f32 v6, v56, 0x3f5db3d7, v103
	v_pk_mul_f32 v[54:55], v[54:55], s[2:3] op_sel_hi:[1,0]
	v_pk_add_f32 v[158:159], v[154:155], v[144:145]
	v_pk_add_f32 v[84:85], v[2:3], v[54:55] op_sel:[0,1] op_sel_hi:[1,0] neg_lo:[0,1] neg_hi:[0,1]
	v_pk_add_f32 v[2:3], v[2:3], v[54:55] op_sel:[0,1] op_sel_hi:[1,0]
	v_pk_mul_f32 v[54:55], v[6:7], s[2:3] op_sel_hi:[0,1]
	v_fmamk_f32 v6, v57, 0xbf5db3d7, v150
	ds_write2_b64 v5, v[156:157], v[158:159] offset1:10
	v_pk_fma_f32 v[86:87], v[6:7], s[6:7], v[54:55] neg_lo:[0,0,1] neg_hi:[0,0,1]
	v_pk_fma_f32 v[54:55], v[6:7], s[6:7], v[54:55] op_sel_hi:[0,1,1]
	v_mul_u32_u24_e32 v5, 0x1e0, v51
	v_lshlrev_b32_sdwa v6, v41, v89 dst_sel:DWORD dst_unused:UNUSED_PAD src0_sel:DWORD src1_sel:BYTE_0
	v_fmac_f32_e32 v103, 0xbf5db3d7, v56
	v_add3_u32 v5, 0, v5, v6
	v_mov_b32_e32 v6, v103
	v_fmac_f32_e32 v150, 0x3f5db3d7, v57
	v_pk_mul_f32 v[56:57], v[6:7], s[2:3] op_sel_hi:[0,1]
	v_pk_add_f32 v[58:59], v[58:59], v[112:113]
	v_pk_add_f32 v[52:53], v[52:53], v[142:143]
	v_mov_b32_e32 v87, v55
	v_mov_b32_e32 v55, v3
	v_pk_fma_f32 v[56:57], v[150:151], s[8:9], v[56:57] op_sel_hi:[0,1,1] neg_lo:[0,0,1] neg_hi:[0,0,1]
	v_mov_b32_e32 v3, v85
	v_mov_b32_e32 v54, v84
	v_pk_add_f32 v[104:105], v[52:53], v[58:59]
	v_pk_add_f32 v[52:53], v[52:53], v[58:59] neg_lo:[0,1] neg_hi:[0,1]
	v_pk_add_f32 v[58:59], v[2:3], v[56:57]
	ds_write2_b64 v5, v[58:59], v[52:53] offset0:20 offset1:30
	v_pk_add_f32 v[52:53], v[54:55], v[86:87] neg_lo:[0,1] neg_hi:[0,1]
	v_pk_add_f32 v[2:3], v[2:3], v[56:57] neg_lo:[0,1] neg_hi:[0,1]
	v_mov_b32_e32 v137, v139
	ds_write2_b64 v5, v[52:53], v[2:3] offset0:40 offset1:50
	v_mov_b32_e32 v97, v101
	v_mov_b32_e32 v133, v135
	;; [unrolled: 1-line block ×3, first 2 shown]
	v_pk_add_f32 v[2:3], v[136:137], v[38:39]
	v_pk_add_f32 v[106:107], v[54:55], v[86:87]
	v_pk_add_f32 v[52:53], v[136:137], v[38:39] neg_lo:[0,1] neg_hi:[0,1]
	v_pk_add_f32 v[54:55], v[148:149], v[136:137]
	v_fmac_f32_e32 v148, -0.5, v2
	v_fmac_f32_e32 v99, -0.5, v3
	v_pk_add_f32 v[2:3], v[96:97], v[132:133]
	v_pk_add_f32 v[56:57], v[96:97], v[132:133] neg_lo:[0,1] neg_hi:[0,1]
	ds_write2_b64 v5, v[104:105], v[106:107] offset1:10
	v_pk_fma_f32 v[2:3], v[2:3], 0.5, v[146:147] op_sel_hi:[1,0,1] neg_lo:[1,0,0] neg_hi:[1,0,0]
	v_pk_mul_f32 v[56:57], v[56:57], s[2:3] op_sel_hi:[1,0]
	v_fmamk_f32 v6, v52, 0x3f5db3d7, v99
	v_perm_b32 v5, v50, v47, s12
	s_movk_i32 s12, 0x1e0
	v_pk_add_f32 v[58:59], v[2:3], v[56:57] op_sel:[0,1] op_sel_hi:[1,0] neg_lo:[0,1] neg_hi:[0,1]
	v_pk_add_f32 v[2:3], v[2:3], v[56:57] op_sel:[0,1] op_sel_hi:[1,0]
	v_pk_mul_f32 v[56:57], v[6:7], s[2:3] op_sel_hi:[0,1]
	v_fmamk_f32 v6, v53, 0xbf5db3d7, v148
	v_pk_mul_lo_u16 v5, v5, s12 op_sel_hi:[1,0]
	v_pk_fma_f32 v[84:85], v[6:7], s[6:7], v[56:57] neg_lo:[0,0,1] neg_hi:[0,0,1]
	v_pk_fma_f32 v[56:57], v[6:7], s[6:7], v[56:57] op_sel_hi:[0,1,1]
	v_lshlrev_b32_e32 v6, 3, v49
	v_and_b32_e32 v9, 0xffe0, v5
	v_fmac_f32_e32 v99, 0xbf5db3d7, v52
	v_add3_u32 v9, 0, v9, v6
	v_mov_b32_e32 v6, v99
	v_pk_add_f32 v[38:39], v[54:55], v[38:39]
	v_pk_add_f32 v[54:55], v[146:147], v[96:97]
	v_fmac_f32_e32 v148, 0x3f5db3d7, v53
	v_pk_mul_f32 v[52:53], v[6:7], s[2:3] op_sel_hi:[0,1]
	v_pk_add_f32 v[54:55], v[54:55], v[132:133]
	v_mov_b32_e32 v51, v3
	v_pk_fma_f32 v[52:53], v[148:149], s[8:9], v[52:53] op_sel_hi:[0,1,1] neg_lo:[0,0,1] neg_hi:[0,0,1]
	v_mov_b32_e32 v3, v59
	v_mov_b32_e32 v85, v57
	;; [unrolled: 1-line block ×3, first 2 shown]
	v_pk_add_f32 v[56:57], v[54:55], v[38:39]
	v_pk_add_f32 v[38:39], v[54:55], v[38:39] neg_lo:[0,1] neg_hi:[0,1]
	v_pk_add_f32 v[54:55], v[2:3], v[52:53]
	ds_write2_b64 v9, v[54:55], v[38:39] offset0:20 offset1:30
	v_pk_add_f32 v[38:39], v[50:51], v[84:85] neg_lo:[0,1] neg_hi:[0,1]
	v_pk_add_f32 v[2:3], v[2:3], v[52:53] neg_lo:[0,1] neg_hi:[0,1]
	v_mov_b32_e32 v91, v33
	ds_write2_b64 v9, v[38:39], v[2:3] offset0:40 offset1:50
	v_mov_b32_e32 v93, v95
	v_pk_add_f32 v[2:3], v[30:31], v[18:19]
	v_pk_add_f32 v[22:23], v[30:31], v[18:19] neg_lo:[0,1] neg_hi:[0,1]
	v_pk_add_f32 v[30:31], v[90:91], v[30:31]
	v_mov_b32_e32 v29, v37
	v_pk_add_f32 v[18:19], v[30:31], v[18:19]
	v_pk_add_f32 v[30:31], v[116:117], v[92:93]
	v_fmac_f32_e32 v90, -0.5, v2
	v_fmac_f32_e32 v33, -0.5, v3
	v_pk_add_f32 v[2:3], v[92:93], v[28:29]
	v_pk_add_f32 v[30:31], v[30:31], v[28:29]
	v_pk_add_f32 v[28:29], v[92:93], v[28:29] neg_lo:[0,1] neg_hi:[0,1]
	v_pk_fma_f32 v[2:3], v[2:3], 0.5, v[116:117] op_sel_hi:[1,0,1] neg_lo:[1,0,0] neg_hi:[1,0,0]
	v_pk_mul_f32 v[28:29], v[28:29], s[2:3] op_sel_hi:[1,0]
	v_fmamk_f32 v6, v22, 0x3f5db3d7, v33
	v_pk_add_f32 v[34:35], v[2:3], v[28:29] op_sel:[0,1] op_sel_hi:[1,0] neg_lo:[0,1] neg_hi:[0,1]
	v_pk_add_f32 v[2:3], v[2:3], v[28:29] op_sel:[0,1] op_sel_hi:[1,0]
	v_pk_mul_f32 v[28:29], v[6:7], s[2:3] op_sel_hi:[0,1]
	v_fmamk_f32 v6, v23, 0xbf5db3d7, v90
	v_pk_fma_f32 v[36:37], v[6:7], s[6:7], v[28:29] neg_lo:[0,0,1] neg_hi:[0,0,1]
	v_pk_fma_f32 v[28:29], v[6:7], s[6:7], v[28:29] op_sel_hi:[0,1,1]
	v_lshrrev_b32_e32 v5, 16, v5
	v_lshlrev_b32_e32 v6, 3, v48
	v_fmac_f32_e32 v33, 0xbf5db3d7, v22
	v_add3_u32 v5, 0, v5, v6
	v_mov_b32_e32 v6, v33
	v_fmac_f32_e32 v90, 0x3f5db3d7, v23
	v_pk_mul_f32 v[22:23], v[6:7], s[2:3] op_sel_hi:[0,1]
	v_mov_b32_e32 v37, v29
	v_mov_b32_e32 v29, v3
	v_pk_fma_f32 v[22:23], v[90:91], s[8:9], v[22:23] op_sel_hi:[0,1,1] neg_lo:[0,0,1] neg_hi:[0,0,1]
	v_mov_b32_e32 v3, v35
	v_pk_add_f32 v[86:87], v[50:51], v[84:85]
	v_mov_b32_e32 v28, v34
	v_pk_add_f32 v[38:39], v[30:31], v[18:19]
	v_pk_add_f32 v[18:19], v[30:31], v[18:19] neg_lo:[0,1] neg_hi:[0,1]
	v_pk_add_f32 v[30:31], v[2:3], v[22:23]
	ds_write2_b64 v9, v[56:57], v[86:87] offset1:10
	v_pk_add_f32 v[48:49], v[28:29], v[36:37]
	ds_write2_b64 v5, v[30:31], v[18:19] offset0:20 offset1:30
	v_pk_add_f32 v[18:19], v[28:29], v[36:37] neg_lo:[0,1] neg_hi:[0,1]
	v_pk_add_f32 v[2:3], v[2:3], v[22:23] neg_lo:[0,1] neg_hi:[0,1]
	ds_write2_b64 v5, v[38:39], v[48:49] offset1:10
	ds_write2_b64 v5, v[18:19], v[2:3] offset0:40 offset1:50
	v_mov_b32_e32 v5, v7
	v_mov_b32_e32 v21, v27
	;; [unrolled: 1-line block ×4, first 2 shown]
	v_pk_add_f32 v[6:7], v[10:11], v[4:5]
	v_pk_add_f32 v[2:3], v[20:21], v[8:9]
	v_pk_add_f32 v[12:13], v[10:11], v[4:5] neg_lo:[0,1] neg_hi:[0,1]
	v_pk_add_f32 v[10:11], v[24:25], v[10:11]
	v_fmac_f32_e32 v24, -0.5, v6
	v_fmac_f32_e32 v15, -0.5, v7
	v_pk_add_f32 v[6:7], v[20:21], v[8:9] neg_lo:[0,1] neg_hi:[0,1]
	v_pk_fma_f32 v[2:3], v[2:3], 0.5, v[0:1] op_sel_hi:[1,0,1] neg_lo:[1,0,0] neg_hi:[1,0,0]
	v_pk_add_f32 v[0:1], v[0:1], v[20:21]
	v_pk_mul_f32 v[6:7], v[6:7], s[2:3] op_sel_hi:[1,0]
	v_pk_add_f32 v[0:1], v[0:1], v[8:9]
	v_pk_add_f32 v[8:9], v[2:3], v[6:7] op_sel:[0,1] op_sel_hi:[1,0] neg_lo:[0,1] neg_hi:[0,1]
	v_pk_add_f32 v[2:3], v[2:3], v[6:7] op_sel:[0,1] op_sel_hi:[1,0]
	v_fmamk_f32 v6, v12, 0x3f5db3d7, v15
	v_pk_add_f32 v[4:5], v[10:11], v[4:5]
	v_pk_mul_f32 v[6:7], v[6:7], s[2:3] op_sel_hi:[0,1]
	v_fmamk_f32 v10, v13, 0xbf5db3d7, v24
	v_pk_fma_f32 v[16:17], v[10:11], s[6:7], v[6:7] neg_lo:[0,0,1] neg_hi:[0,0,1]
	v_pk_fma_f32 v[6:7], v[10:11], s[6:7], v[6:7] op_sel_hi:[0,1,1]
	v_mov_b32_e32 v17, v7
	v_mul_u32_u24_e32 v6, 0x1e0, v45
	v_lshlrev_b32_e32 v7, 3, v46
	v_add3_u32 v14, 0, v6, v7
	v_mov_b32_e32 v6, v8
	v_mov_b32_e32 v7, v3
	v_fmac_f32_e32 v15, 0xbf5db3d7, v12
	v_pk_add_f32 v[10:11], v[0:1], v[4:5]
	v_pk_add_f32 v[18:19], v[6:7], v[16:17]
	v_mov_b32_e32 v8, v15
	ds_write2_b64 v14, v[10:11], v[18:19] offset1:10
	v_fmac_f32_e32 v24, 0x3f5db3d7, v13
	v_pk_mul_f32 v[10:11], v[8:9], s[2:3] op_sel_hi:[0,1]
	v_pk_fma_f32 v[10:11], v[24:25], s[8:9], v[10:11] op_sel_hi:[0,1,1] neg_lo:[0,0,1] neg_hi:[0,0,1]
	v_mov_b32_e32 v3, v9
	v_pk_add_f32 v[8:9], v[2:3], v[10:11]
	v_pk_add_f32 v[0:1], v[0:1], v[4:5] neg_lo:[0,1] neg_hi:[0,1]
	s_mov_b32 s12, 0x8889
	ds_write2_b64 v14, v[8:9], v[0:1] offset0:20 offset1:30
	v_pk_add_f32 v[0:1], v[6:7], v[16:17] neg_lo:[0,1] neg_hi:[0,1]
	v_pk_add_f32 v[2:3], v[2:3], v[10:11] neg_lo:[0,1] neg_hi:[0,1]
	v_mul_u32_u24_sdwa v4, v82, s12 dst_sel:DWORD dst_unused:UNUSED_PAD src0_sel:WORD_0 src1_sel:DWORD
	ds_write2_b64 v14, v[0:1], v[2:3] offset0:40 offset1:50
	v_mul_u32_u24_e32 v1, 0x8889, v42
	v_lshrrev_b32_e32 v42, 21, v4
	v_mul_u32_u24_sdwa v0, v72, s12 dst_sel:DWORD dst_unused:UNUSED_PAD src0_sel:WORD_0 src1_sel:DWORD
	v_lshrrev_b32_e32 v38, 21, v1
	v_mul_lo_u16_e32 v4, 60, v42
	v_lshrrev_b32_e32 v45, 21, v0
	v_mul_lo_u16_e32 v1, 60, v38
	v_sub_u16_e32 v46, v82, v4
	v_mul_lo_u16_e32 v0, 60, v45
	v_sub_u16_e32 v39, v40, v1
	v_mul_u32_u24_e32 v4, 5, v46
	s_movk_i32 s12, 0x89
	v_mul_u32_u24_e32 v1, 5, v39
	v_sub_u16_e32 v40, v72, v0
	v_lshlrev_b32_e32 v20, 3, v4
	v_mul_lo_u16_sdwa v4, v43, s12 dst_sel:DWORD dst_unused:UNUSED_PAD src0_sel:BYTE_0 src1_sel:DWORD
	v_lshlrev_b32_e32 v6, 3, v1
	v_mul_u32_u24_e32 v0, 5, v40
	v_lshrrev_b16_e32 v47, 13, v4
	s_waitcnt lgkmcnt(0)
	s_barrier
	global_load_dwordx2 v[2:3], v6, s[4:5] offset:432
	v_lshlrev_b32_e32 v7, 3, v0
	global_load_dwordx2 v[0:1], v7, s[4:5] offset:432
	global_load_dwordx2 v[8:9], v20, s[4:5] offset:432
	v_mul_lo_u16_e32 v4, 60, v47
	v_sub_u16_e32 v43, v43, v4
	v_mul_u32_u24_sdwa v4, v43, v44 dst_sel:DWORD dst_unused:UNUSED_PAD src0_sel:BYTE_0 src1_sel:DWORD
	v_lshlrev_b32_e32 v21, 3, v4
	global_load_dwordx2 v[10:11], v21, s[4:5] offset:432
	v_subrev_u32_e32 v4, 60, v62
	v_cndmask_b32_e32 v44, v4, v62, vcc
	v_mul_i32_i24_e32 v4, 5, v44
	v_mov_b32_e32 v5, v63
	v_lshl_add_u64 v[32:33], v[4:5], 3, s[4:5]
	global_load_dwordx2 v[34:35], v[32:33], off offset:432
	global_load_dwordx4 v[12:15], v6, s[4:5] offset:416
	global_load_dwordx4 v[24:27], v7, s[4:5] offset:416
	;; [unrolled: 1-line block ×4, first 2 shown]
	global_load_dwordx4 v[56:59], v[32:33], off offset:416
	global_load_dwordx4 v[84:87], v6, s[4:5] offset:400
	global_load_dwordx4 v[90:93], v7, s[4:5] offset:400
	;; [unrolled: 1-line block ×4, first 2 shown]
	global_load_dwordx4 v[102:105], v[32:33], off offset:400
	ds_read2_b64 v[16:19], v125 offset0:128 offset1:224
	ds_read2_b64 v[28:31], v124 offset0:64 offset1:160
	v_cmp_lt_u32_e32 vcc, 59, v62
	s_waitcnt vmcnt(14) lgkmcnt(1)
	v_pk_mul_f32 v[6:7], v[18:19], v[2:3] op_sel:[0,1]
	s_nop 0
	v_pk_fma_f32 v[4:5], v[18:19], v[2:3], v[6:7] op_sel:[0,0,1] op_sel_hi:[1,1,0]
	v_pk_fma_f32 v[6:7], v[18:19], v[2:3], v[6:7] op_sel:[0,0,1] op_sel_hi:[1,0,0] neg_lo:[0,0,1] neg_hi:[0,0,1]
	s_waitcnt vmcnt(13)
	v_pk_mul_f32 v[2:3], v[16:17], v[0:1] op_sel:[0,1]
	v_lshlrev_b32_e32 v5, 3, v44
	v_pk_fma_f32 v[20:21], v[16:17], v[0:1], v[2:3] op_sel:[0,0,1] op_sel_hi:[1,1,0]
	v_pk_fma_f32 v[22:23], v[16:17], v[0:1], v[2:3] op_sel:[0,0,1] op_sel_hi:[1,0,0] neg_lo:[0,0,1] neg_hi:[0,0,1]
	ds_read2_b64 v[0:3], v119 offset1:96
	s_waitcnt vmcnt(12) lgkmcnt(1)
	v_pk_mul_f32 v[16:17], v[30:31], v[8:9] op_sel:[0,1]
	s_waitcnt vmcnt(8)
	v_mov_b32_e32 v6, v27
	v_pk_fma_f32 v[106:107], v[30:31], v[8:9], v[16:17] op_sel:[0,0,1] op_sel_hi:[1,1,0]
	v_pk_fma_f32 v[108:109], v[30:31], v[8:9], v[16:17] op_sel:[0,0,1] op_sel_hi:[1,0,0] neg_lo:[0,0,1] neg_hi:[0,0,1]
	v_pk_mul_f32 v[8:9], v[28:29], v[10:11] op_sel:[0,1]
	v_mov_b32_e32 v107, v109
	v_pk_fma_f32 v[110:111], v[28:29], v[10:11], v[8:9] op_sel:[0,0,1] op_sel_hi:[1,1,0]
	v_pk_fma_f32 v[112:113], v[28:29], v[10:11], v[8:9] op_sel:[0,0,1] op_sel_hi:[1,0,0] neg_lo:[0,0,1] neg_hi:[0,0,1]
	ds_read2_b64 v[28:31], v122 offset0:64 offset1:160
	s_waitcnt lgkmcnt(1)
	v_pk_mul_f32 v[8:9], v[2:3], v[34:35] op_sel:[0,1]
	v_mov_b32_e32 v111, v113
	v_pk_fma_f32 v[114:115], v[2:3], v[34:35], v[8:9] op_sel:[0,0,1] op_sel_hi:[1,1,0]
	v_pk_fma_f32 v[116:117], v[2:3], v[34:35], v[8:9] op_sel:[0,0,1] op_sel_hi:[1,0,0] neg_lo:[0,0,1] neg_hi:[0,0,1]
	v_mov_b32_e32 v2, v15
	v_pk_mul_f32 v[2:3], v[0:1], v[2:3] op_sel_hi:[1,0]
	v_mov_b32_e32 v115, v117
	v_pk_fma_f32 v[8:9], v[0:1], v[14:15], v[2:3] op_sel:[0,0,1] op_sel_hi:[1,1,0]
	v_pk_fma_f32 v[14:15], v[0:1], v[14:15], v[2:3] op_sel:[0,0,1] op_sel_hi:[1,0,0] neg_lo:[0,0,1] neg_hi:[0,0,1]
	s_waitcnt lgkmcnt(0)
	v_pk_mul_f32 v[0:1], v[30:31], v[12:13] op_sel:[0,1]
	v_mov_b32_e32 v21, v23
	v_pk_fma_f32 v[10:11], v[30:31], v[12:13], v[0:1] op_sel:[0,0,1] op_sel_hi:[1,1,0]
	v_pk_fma_f32 v[16:17], v[30:31], v[12:13], v[0:1] op_sel:[0,0,1] op_sel_hi:[1,0,0] neg_lo:[0,0,1] neg_hi:[0,0,1]
	ds_read2_b64 v[0:3], v127 offset0:64 offset1:160
	v_pk_mul_f32 v[12:13], v[28:29], v[24:25] op_sel:[0,1]
	v_mov_b32_e32 v11, v17
	v_pk_fma_f32 v[30:31], v[28:29], v[24:25], v[12:13] op_sel:[0,0,1] op_sel_hi:[1,1,0]
	v_pk_fma_f32 v[34:35], v[28:29], v[24:25], v[12:13] op_sel:[0,0,1] op_sel_hi:[1,0,0] neg_lo:[0,0,1] neg_hi:[0,0,1]
	s_waitcnt lgkmcnt(0)
	v_pk_mul_f32 v[12:13], v[2:3], v[6:7] op_sel_hi:[1,0]
	s_waitcnt vmcnt(6)
	v_mov_b32_e32 v6, v55
	v_pk_fma_f32 v[28:29], v[2:3], v[26:27], v[12:13] op_sel:[0,0,1] op_sel_hi:[1,1,0]
	v_pk_fma_f32 v[36:37], v[2:3], v[26:27], v[12:13] op_sel:[0,0,1] op_sel_hi:[1,0,0] neg_lo:[0,0,1] neg_hi:[0,0,1]
	ds_read2_b64 v[24:27], v128 offset1:96
	v_mov_b32_e32 v2, v51
	v_pk_mul_f32 v[2:3], v[0:1], v[2:3] op_sel_hi:[1,0]
	v_mov_b32_e32 v31, v35
	v_pk_fma_f32 v[130:131], v[0:1], v[50:51], v[2:3] op_sel:[0,0,1] op_sel_hi:[1,1,0]
	v_pk_fma_f32 v[132:133], v[0:1], v[50:51], v[2:3] op_sel:[0,0,1] op_sel_hi:[1,0,0] neg_lo:[0,0,1] neg_hi:[0,0,1]
	s_waitcnt lgkmcnt(0)
	v_pk_mul_f32 v[0:1], v[26:27], v[48:49] op_sel:[0,1]
	v_pk_mul_f32 v[12:13], v[24:25], v[52:53] op_sel:[0,1]
	v_pk_fma_f32 v[134:135], v[26:27], v[48:49], v[0:1] op_sel:[0,0,1] op_sel_hi:[1,1,0]
	v_pk_fma_f32 v[136:137], v[26:27], v[48:49], v[0:1] op_sel:[0,0,1] op_sel_hi:[1,0,0] neg_lo:[0,0,1] neg_hi:[0,0,1]
	ds_read2_b64 v[0:3], v121 offset0:128 offset1:224
	v_pk_fma_f32 v[138:139], v[24:25], v[52:53], v[12:13] op_sel:[0,0,1] op_sel_hi:[1,1,0]
	v_pk_fma_f32 v[52:53], v[24:25], v[52:53], v[12:13] op_sel:[0,0,1] op_sel_hi:[1,0,0] neg_lo:[0,0,1] neg_hi:[0,0,1]
	ds_read2_b64 v[24:27], v123 offset0:64 offset1:160
	ds_read2_b64 v[48:51], v79 offset0:128 offset1:224
	s_waitcnt lgkmcnt(2)
	v_pk_mul_f32 v[12:13], v[2:3], v[6:7] op_sel_hi:[1,0]
	s_waitcnt vmcnt(4)
	v_mov_b32_e32 v6, v87
	v_pk_fma_f32 v[140:141], v[2:3], v[54:55], v[12:13] op_sel:[0,0,1] op_sel_hi:[1,1,0]
	v_pk_fma_f32 v[54:55], v[2:3], v[54:55], v[12:13] op_sel:[0,0,1] op_sel_hi:[1,0,0] neg_lo:[0,0,1] neg_hi:[0,0,1]
	v_mov_b32_e32 v2, v59
	v_pk_mul_f32 v[2:3], v[0:1], v[2:3] op_sel_hi:[1,0]
	s_waitcnt lgkmcnt(1)
	v_pk_mul_f32 v[12:13], v[24:25], v[6:7] op_sel_hi:[1,0]
	v_pk_fma_f32 v[142:143], v[0:1], v[58:59], v[2:3] op_sel:[0,0,1] op_sel_hi:[1,1,0]
	v_pk_fma_f32 v[58:59], v[0:1], v[58:59], v[2:3] op_sel:[0,0,1] op_sel_hi:[1,0,0] neg_lo:[0,0,1] neg_hi:[0,0,1]
	v_pk_mul_f32 v[0:1], v[56:57], v[26:27] op_sel:[0,1]
	v_pk_fma_f32 v[18:19], v[24:25], v[86:87], v[12:13] op_sel:[0,0,1] op_sel_hi:[1,1,0]
	v_pk_fma_f32 v[144:145], v[56:57], v[26:27], v[0:1] op_sel:[0,0,1] op_sel_hi:[1,1,0]
	v_pk_fma_f32 v[56:57], v[56:57], v[26:27], v[0:1] op_sel:[0,0,1] op_sel_hi:[1,0,0] neg_lo:[1,0,0] neg_hi:[1,0,0]
	ds_read2_b64 v[0:3], v120 offset1:96
	v_pk_fma_f32 v[26:27], v[24:25], v[86:87], v[12:13] op_sel:[0,0,1] op_sel_hi:[1,0,0] neg_lo:[0,0,1] neg_hi:[0,0,1]
	s_waitcnt vmcnt(2)
	v_mov_b32_e32 v6, v97
	v_mov_b32_e32 v145, v57
	;; [unrolled: 1-line block ×3, first 2 shown]
	s_waitcnt lgkmcnt(0)
	v_pk_mul_f32 v[12:13], v[2:3], v[84:85] op_sel:[0,1]
	v_pk_add_f32 v[56:57], v[144:145], v[114:115]
	v_pk_fma_f32 v[24:25], v[2:3], v[84:85], v[12:13] op_sel:[0,0,1] op_sel_hi:[1,0,0]
	v_pk_fma_f32 v[12:13], v[2:3], v[84:85], v[12:13] op_sel:[0,0,1] op_sel_hi:[1,0,0] neg_lo:[0,0,1] neg_hi:[0,0,1]
	v_pk_mul_f32 v[2:3], v[0:1], v[90:91] op_sel:[0,1]
	v_pk_add_f32 v[58:59], v[144:145], v[114:115] neg_lo:[0,1] neg_hi:[0,1]
	v_pk_fma_f32 v[84:85], v[0:1], v[90:91], v[2:3] op_sel:[0,0,1] op_sel_hi:[1,0,0]
	v_pk_fma_f32 v[32:33], v[0:1], v[90:91], v[2:3] op_sel:[0,0,1] op_sel_hi:[1,0,0] neg_lo:[0,0,1] neg_hi:[0,0,1]
	v_mov_b32_e32 v0, v93
	v_pk_mul_f32 v[0:1], v[50:51], v[0:1] op_sel_hi:[1,0]
	v_mov_b32_e32 v141, v55
	v_pk_fma_f32 v[86:87], v[50:51], v[92:93], v[0:1] op_sel:[0,0,1] op_sel_hi:[1,1,0]
	v_pk_fma_f32 v[90:91], v[50:51], v[92:93], v[0:1] op_sel:[0,0,1] op_sel_hi:[1,0,0] neg_lo:[0,0,1] neg_hi:[0,0,1]
	ds_read2_b64 v[0:3], v81 offset0:64 offset1:160
	v_pk_mul_f32 v[50:51], v[48:49], v[6:7] op_sel_hi:[1,0]
	v_mov_b32_e32 v139, v53
	v_pk_fma_f32 v[92:93], v[48:49], v[96:97], v[50:51] op_sel:[0,0,1] op_sel_hi:[1,1,0]
	v_pk_fma_f32 v[96:97], v[48:49], v[96:97], v[50:51] op_sel:[0,0,1] op_sel_hi:[1,0,0] neg_lo:[0,0,1] neg_hi:[0,0,1]
	s_waitcnt lgkmcnt(0)
	v_pk_mul_f32 v[48:49], v[2:3], v[94:95] op_sel:[0,1]
	v_pk_add_f32 v[52:53], v[138:139], v[110:111] neg_lo:[0,1] neg_hi:[0,1]
	v_pk_fma_f32 v[146:147], v[2:3], v[94:95], v[48:49] op_sel:[0,0,1] op_sel_hi:[1,0,0]
	v_pk_fma_f32 v[94:95], v[2:3], v[94:95], v[48:49] op_sel:[0,0,1] op_sel_hi:[1,0,0] neg_lo:[0,0,1] neg_hi:[0,0,1]
	ds_read2_b64 v[48:51], v88 offset0:64 offset1:160
	s_waitcnt vmcnt(1)
	v_pk_mul_f32 v[2:3], v[0:1], v[98:99] op_sel:[0,1]
	v_mov_b32_e32 v135, v137
	v_pk_fma_f32 v[148:149], v[0:1], v[98:99], v[2:3] op_sel:[0,0,1] op_sel_hi:[1,0,0]
	v_pk_fma_f32 v[98:99], v[0:1], v[98:99], v[2:3] op_sel:[0,0,1] op_sel_hi:[1,0,0] neg_lo:[0,0,1] neg_hi:[0,0,1]
	v_mov_b32_e32 v0, v101
	s_waitcnt lgkmcnt(0)
	v_pk_mul_f32 v[150:151], v[50:51], v[0:1] op_sel_hi:[1,0]
	ds_read2_b64 v[0:3], v126 offset0:128 offset1:224
	v_pk_fma_f32 v[152:153], v[50:51], v[100:101], v[150:151] op_sel:[0,0,1] op_sel_hi:[1,1,0]
	v_pk_fma_f32 v[100:101], v[50:51], v[100:101], v[150:151] op_sel:[0,0,1] op_sel_hi:[1,0,0] neg_lo:[0,0,1] neg_hi:[0,0,1]
	s_waitcnt vmcnt(0)
	v_pk_mul_f32 v[50:51], v[104:105], v[48:49] op_sel:[0,1]
	v_mov_b32_e32 v153, v101
	v_pk_fma_f32 v[150:151], v[104:105], v[48:49], v[50:51] op_sel:[0,0,1] op_sel_hi:[1,1,0]
	v_pk_fma_f32 v[48:49], v[104:105], v[48:49], v[50:51] op_sel:[0,0,1] op_sel_hi:[1,0,0] neg_lo:[1,0,0] neg_hi:[1,0,0]
	s_waitcnt lgkmcnt(0)
	v_pk_mul_f32 v[50:51], v[102:103], v[2:3] op_sel:[0,1]
	v_mov_b32_e32 v151, v49
	v_pk_fma_f32 v[104:105], v[102:103], v[2:3], v[50:51] op_sel:[0,0,1] op_sel_hi:[1,0,0]
	v_pk_fma_f32 v[2:3], v[102:103], v[2:3], v[50:51] op_sel:[0,0,1] op_sel_hi:[1,0,0] neg_lo:[1,0,0] neg_hi:[1,0,0]
	ds_read2_b64 v[48:51], v118 offset1:96
	v_mov_b32_e32 v105, v3
	v_pk_add_f32 v[102:103], v[104:105], v[144:145]
	v_fmac_f32_e32 v3, -0.5, v57
	v_pk_add_f32 v[102:103], v[102:103], v[114:115]
	v_pk_add_f32 v[114:115], v[150:151], v[142:143]
	v_pk_add_f32 v[116:117], v[150:151], v[142:143] neg_lo:[0,1] neg_hi:[0,1]
	v_fmac_f32_e32 v104, -0.5, v56
	s_waitcnt lgkmcnt(0)
	v_pk_add_f32 v[56:57], v[48:49], v[150:151]
	v_pk_fma_f32 v[48:49], v[114:115], 0.5, v[48:49] op_sel_hi:[1,0,1] neg_lo:[1,0,0] neg_hi:[1,0,0]
	v_pk_mul_f32 v[114:115], v[116:117], s[2:3] op_sel_hi:[1,0]
	v_fmamk_f32 v2, v58, 0x3f5db3d7, v3
	v_pk_add_f32 v[116:117], v[48:49], v[114:115] op_sel:[0,1] op_sel_hi:[1,0] neg_lo:[0,1] neg_hi:[0,1]
	v_pk_add_f32 v[48:49], v[48:49], v[114:115] op_sel:[0,1] op_sel_hi:[1,0]
	v_pk_mul_f32 v[114:115], v[2:3], s[2:3] op_sel_hi:[0,1]
	v_fmamk_f32 v2, v59, 0xbf5db3d7, v104
	v_pk_add_f32 v[56:57], v[56:57], v[142:143]
	v_pk_fma_f32 v[142:143], v[2:3], s[6:7], v[114:115] neg_lo:[0,0,1] neg_hi:[0,0,1]
	v_pk_fma_f32 v[114:115], v[2:3], s[6:7], v[114:115] op_sel_hi:[0,1,1]
	v_mov_b32_e32 v2, 0xb40
	v_cndmask_b32_e32 v2, 0, v2, vcc
	v_fmac_f32_e32 v3, 0xbf5db3d7, v58
	v_add3_u32 v5, 0, v2, v5
	v_mov_b32_e32 v2, v3
	v_fmac_f32_e32 v104, 0x3f5db3d7, v59
	v_pk_mul_f32 v[2:3], v[2:3], s[2:3] op_sel_hi:[0,1]
	v_mov_b32_e32 v143, v115
	v_mov_b32_e32 v150, v116
	;; [unrolled: 1-line block ×3, first 2 shown]
	v_pk_fma_f32 v[2:3], v[104:105], s[8:9], v[2:3] op_sel_hi:[0,1,1] neg_lo:[0,0,1] neg_hi:[0,0,1]
	v_mov_b32_e32 v49, v117
	v_pk_add_f32 v[154:155], v[56:57], v[102:103]
	v_pk_add_f32 v[156:157], v[150:151], v[142:143]
	v_pk_add_f32 v[56:57], v[56:57], v[102:103] neg_lo:[0,1] neg_hi:[0,1]
	v_pk_add_f32 v[58:59], v[48:49], v[2:3]
	ds_read_b64 v[114:115], v83
	ds_read_b64 v[144:145], v73
	s_waitcnt lgkmcnt(0)
	s_barrier
	ds_write2_b64 v5, v[154:155], v[156:157] offset1:60
	ds_write2_b64 v5, v[58:59], v[56:57] offset0:120 offset1:180
	v_pk_add_f32 v[56:57], v[150:151], v[142:143] neg_lo:[0,1] neg_hi:[0,1]
	v_pk_add_f32 v[2:3], v[48:49], v[2:3] neg_lo:[0,1] neg_hi:[0,1]
	v_add_u32_e32 v5, 0x400, v5
	ds_write2_b64 v5, v[56:57], v[2:3] offset0:112 offset1:172
	v_pk_add_f32 v[2:3], v[152:153], v[140:141]
	v_pk_add_f32 v[48:49], v[50:51], v[152:153]
	v_pk_fma_f32 v[2:3], v[2:3], 0.5, v[50:51] op_sel_hi:[1,0,1] neg_lo:[1,0,0] neg_hi:[1,0,0]
	v_mov_b32_e32 v149, v99
	v_pk_add_f32 v[50:51], v[138:139], v[110:111]
	v_pk_add_f32 v[54:55], v[148:149], v[138:139]
	v_fmac_f32_e32 v148, -0.5, v50
	v_fmac_f32_e32 v99, -0.5, v51
	v_pk_add_f32 v[50:51], v[152:153], v[140:141] neg_lo:[0,1] neg_hi:[0,1]
	v_fmamk_f32 v6, v52, 0x3f5db3d7, v99
	v_pk_mul_f32 v[50:51], v[50:51], s[2:3] op_sel_hi:[1,0]
	v_lshlrev_b32_sdwa v5, v41, v43 dst_sel:DWORD dst_unused:UNUSED_PAD src0_sel:DWORD src1_sel:BYTE_0
	v_pk_add_f32 v[56:57], v[2:3], v[50:51] op_sel:[0,1] op_sel_hi:[1,0] neg_lo:[0,1] neg_hi:[0,1]
	v_pk_add_f32 v[2:3], v[2:3], v[50:51] op_sel:[0,1] op_sel_hi:[1,0]
	v_pk_mul_f32 v[50:51], v[6:7], s[2:3] op_sel_hi:[0,1]
	v_fmamk_f32 v6, v53, 0xbf5db3d7, v148
	v_pk_fma_f32 v[58:59], v[6:7], s[6:7], v[50:51] neg_lo:[0,0,1] neg_hi:[0,0,1]
	v_pk_fma_f32 v[50:51], v[6:7], s[6:7], v[50:51] op_sel_hi:[0,1,1]
	v_mul_u32_u24_e32 v6, 0xb40, v47
	v_fmac_f32_e32 v99, 0xbf5db3d7, v52
	v_add3_u32 v5, 0, v6, v5
	v_mov_b32_e32 v6, v99
	v_fmac_f32_e32 v148, 0x3f5db3d7, v53
	v_pk_mul_f32 v[52:53], v[6:7], s[2:3] op_sel_hi:[0,1]
	v_pk_add_f32 v[54:55], v[54:55], v[110:111]
	v_pk_add_f32 v[48:49], v[48:49], v[140:141]
	v_mov_b32_e32 v59, v51
	v_mov_b32_e32 v50, v56
	;; [unrolled: 1-line block ×3, first 2 shown]
	v_pk_fma_f32 v[52:53], v[148:149], s[8:9], v[52:53] op_sel_hi:[0,1,1] neg_lo:[0,0,1] neg_hi:[0,0,1]
	v_mov_b32_e32 v3, v57
	v_pk_add_f32 v[100:101], v[48:49], v[54:55]
	v_pk_add_f32 v[102:103], v[50:51], v[58:59]
	v_pk_add_f32 v[48:49], v[48:49], v[54:55] neg_lo:[0,1] neg_hi:[0,1]
	v_pk_add_f32 v[54:55], v[2:3], v[52:53]
	ds_write2_b64 v5, v[100:101], v[102:103] offset1:60
	ds_write2_b64 v5, v[54:55], v[48:49] offset0:120 offset1:180
	v_pk_add_f32 v[48:49], v[50:51], v[58:59] neg_lo:[0,1] neg_hi:[0,1]
	v_pk_add_f32 v[2:3], v[2:3], v[52:53] neg_lo:[0,1] neg_hi:[0,1]
	v_add_u32_e32 v5, 0x400, v5
	ds_write2_b64 v5, v[48:49], v[2:3] offset0:112 offset1:172
	v_mov_b32_e32 v93, v97
	v_mov_b32_e32 v131, v133
	;; [unrolled: 1-line block ×3, first 2 shown]
	v_pk_add_f32 v[2:3], v[134:135], v[106:107]
	v_pk_add_f32 v[48:49], v[134:135], v[106:107] neg_lo:[0,1] neg_hi:[0,1]
	v_pk_add_f32 v[50:51], v[146:147], v[134:135]
	v_fmac_f32_e32 v146, -0.5, v2
	v_fmac_f32_e32 v95, -0.5, v3
	v_pk_add_f32 v[2:3], v[92:93], v[130:131]
	v_pk_add_f32 v[54:55], v[92:93], v[130:131] neg_lo:[0,1] neg_hi:[0,1]
	v_pk_fma_f32 v[2:3], v[2:3], 0.5, v[144:145] op_sel_hi:[1,0,1] neg_lo:[1,0,0] neg_hi:[1,0,0]
	v_pk_mul_f32 v[54:55], v[54:55], s[2:3] op_sel_hi:[1,0]
	v_fmamk_f32 v6, v48, 0x3f5db3d7, v95
	v_pk_add_f32 v[56:57], v[2:3], v[54:55] op_sel:[0,1] op_sel_hi:[1,0] neg_lo:[0,1] neg_hi:[0,1]
	v_pk_add_f32 v[2:3], v[2:3], v[54:55] op_sel:[0,1] op_sel_hi:[1,0]
	v_pk_mul_f32 v[54:55], v[6:7], s[2:3] op_sel_hi:[0,1]
	v_fmamk_f32 v6, v49, 0xbf5db3d7, v146
	v_pk_add_f32 v[52:53], v[144:145], v[92:93]
	v_pk_fma_f32 v[58:59], v[6:7], s[6:7], v[54:55] neg_lo:[0,0,1] neg_hi:[0,0,1]
	v_pk_fma_f32 v[54:55], v[6:7], s[6:7], v[54:55] op_sel_hi:[0,1,1]
	v_pk_add_f32 v[50:51], v[50:51], v[106:107]
	v_pk_add_f32 v[52:53], v[52:53], v[130:131]
	v_mov_b32_e32 v59, v55
	v_mul_u32_u24_e32 v5, 0xb40, v42
	v_lshlrev_b32_e32 v6, 3, v46
	v_mov_b32_e32 v42, v56
	v_mov_b32_e32 v43, v3
	v_fmac_f32_e32 v95, 0xbf5db3d7, v48
	v_add3_u32 v5, 0, v5, v6
	v_pk_add_f32 v[46:47], v[52:53], v[50:51]
	v_pk_add_f32 v[54:55], v[42:43], v[58:59]
	v_mov_b32_e32 v6, v95
	ds_write2_b64 v5, v[46:47], v[54:55] offset1:60
	v_fmac_f32_e32 v146, 0x3f5db3d7, v49
	v_pk_mul_f32 v[46:47], v[6:7], s[2:3] op_sel_hi:[0,1]
	v_pk_fma_f32 v[46:47], v[146:147], s[8:9], v[46:47] op_sel_hi:[0,1,1] neg_lo:[0,0,1] neg_hi:[0,0,1]
	v_mov_b32_e32 v3, v57
	v_pk_add_f32 v[48:49], v[52:53], v[50:51] neg_lo:[0,1] neg_hi:[0,1]
	v_pk_add_f32 v[50:51], v[2:3], v[46:47]
	ds_write2_b64 v5, v[50:51], v[48:49] offset0:120 offset1:180
	v_pk_add_f32 v[42:43], v[42:43], v[58:59] neg_lo:[0,1] neg_hi:[0,1]
	v_pk_add_f32 v[2:3], v[2:3], v[46:47] neg_lo:[0,1] neg_hi:[0,1]
	v_add_u32_e32 v5, 0x400, v5
	v_mov_b32_e32 v85, v33
	ds_write2_b64 v5, v[42:43], v[2:3] offset0:112 offset1:172
	v_mov_b32_e32 v87, v91
	v_pk_add_f32 v[2:3], v[30:31], v[20:21]
	v_pk_add_f32 v[22:23], v[30:31], v[20:21] neg_lo:[0,1] neg_hi:[0,1]
	v_pk_add_f32 v[30:31], v[84:85], v[30:31]
	v_mov_b32_e32 v29, v37
	v_pk_add_f32 v[20:21], v[30:31], v[20:21]
	v_pk_add_f32 v[30:31], v[114:115], v[86:87]
	v_fmac_f32_e32 v84, -0.5, v2
	v_fmac_f32_e32 v33, -0.5, v3
	v_pk_add_f32 v[2:3], v[86:87], v[28:29]
	v_pk_add_f32 v[30:31], v[30:31], v[28:29]
	v_pk_add_f32 v[28:29], v[86:87], v[28:29] neg_lo:[0,1] neg_hi:[0,1]
	v_pk_fma_f32 v[2:3], v[2:3], 0.5, v[114:115] op_sel_hi:[1,0,1] neg_lo:[1,0,0] neg_hi:[1,0,0]
	v_pk_mul_f32 v[28:29], v[28:29], s[2:3] op_sel_hi:[1,0]
	v_fmamk_f32 v6, v22, 0x3f5db3d7, v33
	v_pk_add_f32 v[34:35], v[2:3], v[28:29] op_sel:[0,1] op_sel_hi:[1,0] neg_lo:[0,1] neg_hi:[0,1]
	v_pk_add_f32 v[2:3], v[2:3], v[28:29] op_sel:[0,1] op_sel_hi:[1,0]
	v_pk_mul_f32 v[28:29], v[6:7], s[2:3] op_sel_hi:[0,1]
	v_fmamk_f32 v6, v23, 0xbf5db3d7, v84
	v_pk_fma_f32 v[36:37], v[6:7], s[6:7], v[28:29] neg_lo:[0,0,1] neg_hi:[0,0,1]
	v_pk_fma_f32 v[28:29], v[6:7], s[6:7], v[28:29] op_sel_hi:[0,1,1]
	v_mul_u32_u24_e32 v5, 0xb40, v45
	v_lshlrev_b32_e32 v6, 3, v40
	v_fmac_f32_e32 v33, 0xbf5db3d7, v22
	v_add3_u32 v12, 0, v5, v6
	v_mov_b32_e32 v6, v33
	v_fmac_f32_e32 v84, 0x3f5db3d7, v23
	v_pk_mul_f32 v[22:23], v[6:7], s[2:3] op_sel_hi:[0,1]
	v_mov_b32_e32 v37, v29
	v_mov_b32_e32 v28, v34
	;; [unrolled: 1-line block ×3, first 2 shown]
	v_pk_fma_f32 v[22:23], v[84:85], s[8:9], v[22:23] op_sel_hi:[0,1,1] neg_lo:[0,0,1] neg_hi:[0,0,1]
	v_mov_b32_e32 v3, v35
	v_pk_add_f32 v[40:41], v[30:31], v[20:21]
	v_pk_add_f32 v[42:43], v[28:29], v[36:37]
	v_pk_add_f32 v[20:21], v[30:31], v[20:21] neg_lo:[0,1] neg_hi:[0,1]
	v_pk_add_f32 v[30:31], v[2:3], v[22:23]
	ds_write2_b64 v12, v[40:41], v[42:43] offset1:60
	ds_write2_b64 v12, v[30:31], v[20:21] offset0:120 offset1:180
	v_mov_b32_e32 v5, v7
	v_pk_add_f32 v[6:7], v[28:29], v[36:37] neg_lo:[0,1] neg_hi:[0,1]
	v_pk_add_f32 v[2:3], v[2:3], v[22:23] neg_lo:[0,1] neg_hi:[0,1]
	v_add_u32_e32 v12, 0x400, v12
	v_mov_b32_e32 v19, v27
	v_mov_b32_e32 v9, v15
	v_mul_u32_u24_e32 v14, 0xb40, v38
	v_lshlrev_b32_e32 v15, 3, v39
	v_mov_b32_e32 v25, v13
	ds_write2_b64 v12, v[6:7], v[2:3] offset0:112 offset1:172
	v_pk_add_f32 v[2:3], v[10:11], v[4:5]
	v_mov_b32_e32 v6, v24
	v_add3_u32 v26, 0, v14, v15
	v_pk_add_f32 v[14:15], v[0:1], v[18:19]
	v_fmac_f32_e32 v6, -0.5, v2
	v_pk_add_f32 v[16:17], v[24:25], v[10:11]
	v_pk_add_f32 v[10:11], v[10:11], v[4:5] neg_lo:[0,1] neg_hi:[0,1]
	v_fmac_f32_e32 v13, -0.5, v3
	v_pk_add_f32 v[14:15], v[14:15], v[8:9]
	v_fmamk_f32 v2, v11, 0xbf5db3d7, v6
	v_fmac_f32_e32 v6, 0x3f5db3d7, v11
	v_fmamk_f32 v12, v10, 0x3f5db3d7, v13
	v_fmac_f32_e32 v13, 0xbf5db3d7, v10
	v_pk_add_f32 v[10:11], v[18:19], v[8:9]
	v_pk_add_f32 v[8:9], v[18:19], v[8:9] neg_lo:[0,1] neg_hi:[0,1]
	v_pk_fma_f32 v[0:1], v[10:11], 0.5, v[0:1] op_sel_hi:[1,0,1] neg_lo:[1,0,0] neg_hi:[1,0,0]
	v_pk_mul_f32 v[8:9], v[8:9], s[2:3] op_sel_hi:[1,0]
	v_pk_mul_f32 v[18:19], v[12:13], s[2:3] op_sel_hi:[0,1]
	v_pk_add_f32 v[4:5], v[16:17], v[4:5]
	v_pk_add_f32 v[16:17], v[0:1], v[8:9] op_sel:[0,1] op_sel_hi:[1,0] neg_lo:[0,1] neg_hi:[0,1]
	v_pk_add_f32 v[0:1], v[0:1], v[8:9] op_sel:[0,1] op_sel_hi:[1,0]
	v_pk_fma_f32 v[20:21], v[2:3], s[6:7], v[18:19] neg_lo:[0,0,1] neg_hi:[0,0,1]
	v_pk_fma_f32 v[2:3], v[2:3], s[6:7], v[18:19] op_sel_hi:[0,1,1]
	v_mov_b32_e32 v8, v16
	v_mov_b32_e32 v9, v1
	;; [unrolled: 1-line block ×3, first 2 shown]
	v_pk_add_f32 v[10:11], v[14:15], v[4:5]
	v_pk_add_f32 v[2:3], v[8:9], v[20:21]
	ds_write2_b64 v26, v[10:11], v[2:3] offset1:60
	v_mov_b32_e32 v2, v13
	v_pk_mul_f32 v[2:3], v[2:3], s[2:3] op_sel_hi:[0,1]
	v_pk_fma_f32 v[2:3], v[6:7], s[8:9], v[2:3] op_sel_hi:[0,1,1] neg_lo:[0,0,1] neg_hi:[0,0,1]
	v_mov_b32_e32 v1, v17
	v_pk_add_f32 v[6:7], v[0:1], v[2:3]
	v_pk_add_f32 v[4:5], v[14:15], v[4:5] neg_lo:[0,1] neg_hi:[0,1]
	ds_write2_b64 v26, v[6:7], v[4:5] offset0:120 offset1:180
	v_pk_add_f32 v[4:5], v[8:9], v[20:21] neg_lo:[0,1] neg_hi:[0,1]
	v_pk_add_f32 v[0:1], v[0:1], v[2:3] neg_lo:[0,1] neg_hi:[0,1]
	v_add_u32_e32 v2, 0x400, v26
	v_add_u32_e32 v12, 0x2a0, v62
	s_movk_i32 s2, 0x2d83
	ds_write2_b64 v2, v[4:5], v[0:1] offset0:112 offset1:172
	v_mul_u32_u24_sdwa v4, v12, s2 dst_sel:DWORD dst_unused:UNUSED_PAD src0_sel:WORD_0 src1_sel:DWORD
	v_lshrrev_b32_e32 v13, 22, v4
	v_add_u32_e32 v4, 0x540, v62
	v_mul_u32_u24_sdwa v5, v4, s2 dst_sel:DWORD dst_unused:UNUSED_PAD src0_sel:WORD_0 src1_sel:DWORD
	v_lshrrev_b32_e32 v5, 22, v5
	v_mul_lo_u16_e32 v5, 0x168, v5
	v_sub_u16_e32 v4, v4, v5
	v_lshlrev_b32_e32 v82, 3, v4
	v_add_u32_e32 v4, 0x4e0, v62
	v_mul_u32_u24_sdwa v5, v4, s2 dst_sel:DWORD dst_unused:UNUSED_PAD src0_sel:WORD_0 src1_sel:DWORD
	v_lshrrev_b32_e32 v5, 22, v5
	v_mul_lo_u16_e32 v5, 0x168, v5
	v_sub_u16_e32 v4, v4, v5
	v_lshlrev_b32_e32 v89, 3, v4
	v_mov_b32_e32 v4, 0x480
	v_bitop3_b32 v4, v62, s10, v4 bitop3:0xc8
	v_mul_u32_u24_e32 v4, 0x2d83, v4
	v_lshrrev_b32_e32 v4, 22, v4
	v_mul_lo_u16_e32 v4, 0x168, v4
	v_sub_u16_e32 v4, v80, v4
	v_lshlrev_b32_e32 v80, 3, v4
	v_add_u32_e32 v4, 0x420, v62
	v_mul_u32_u24_sdwa v5, v4, s2 dst_sel:DWORD dst_unused:UNUSED_PAD src0_sel:WORD_0 src1_sel:DWORD
	v_lshrrev_b32_e32 v129, 22, v5
	v_lshl_add_u64 v[0:1], s[4:5], 0, v[76:77]
	v_mul_lo_u16_e32 v5, 0x168, v129
	v_add_co_u32_e32 v6, vcc, s18, v0
	v_sub_u16_e32 v4, v4, v5
	v_lshl_add_u64 v[2:3], s[4:5], 0, v[74:75]
	v_addc_co_u32_e32 v7, vcc, 0, v1, vcc
	v_lshlrev_b32_e32 v130, 3, v4
	v_add_u32_e32 v4, 0x3c0, v62
	s_waitcnt lgkmcnt(0)
	s_barrier
	global_load_dwordx2 v[18:19], v[2:3], off offset:2800
	global_load_dwordx2 v[20:21], v[6:7], off offset:432
	;; [unrolled: 1-line block ×4, first 2 shown]
	v_mul_u32_u24_sdwa v5, v4, s2 dst_sel:DWORD dst_unused:UNUSED_PAD src0_sel:WORD_0 src1_sel:DWORD
	v_lshrrev_b32_e32 v5, 22, v5
	v_mul_lo_u16_e32 v5, 0x168, v5
	v_sub_u16_e32 v4, v4, v5
	v_lshlrev_b32_e32 v131, 3, v4
	v_add_u32_e32 v4, 0x360, v62
	v_mul_u32_u24_sdwa v5, v4, s2 dst_sel:DWORD dst_unused:UNUSED_PAD src0_sel:WORD_0 src1_sel:DWORD
	v_lshrrev_b32_e32 v5, 22, v5
	v_mul_lo_u16_e32 v5, 0x168, v5
	global_load_dwordx2 v[26:27], v82, s[4:5] offset:2800
	global_load_dwordx2 v[28:29], v89, s[4:5] offset:2800
	;; [unrolled: 1-line block ×3, first 2 shown]
	v_sub_u16_e32 v4, v4, v5
	v_lshlrev_b32_e32 v132, 3, v4
	v_mov_b32_e32 v4, 0x300
	v_bitop3_b32 v4, v62, s10, v4 bitop3:0xc8
	global_load_dwordx2 v[32:33], v130, s[4:5] offset:2800
	global_load_dwordx2 v[34:35], v131, s[4:5] offset:2800
	;; [unrolled: 1-line block ×3, first 2 shown]
	v_mul_u32_u24_e32 v4, 0x2d83, v4
	v_lshrrev_b32_e32 v4, 22, v4
	v_mul_lo_u16_e32 v4, 0x168, v4
	v_sub_u16_e32 v4, v78, v4
	v_lshlrev_b32_e32 v78, 3, v4
	v_mul_lo_u16_e32 v4, 0x168, v13
	v_sub_u16_e32 v4, v12, v4
	global_load_dwordx2 v[38:39], v78, s[4:5] offset:2800
	v_lshlrev_b32_e32 v133, 3, v4
	global_load_dwordx2 v[40:41], v133, s[4:5] offset:2800
	global_load_dwordx2 v[42:43], v[0:1], off offset:2992
	v_add_u32_e32 v4, 0xffffffb8, v62
	v_cmp_gt_u32_e32 vcc, s19, v62
	v_mov_b32_e32 v45, v63
	ds_read2_b64 v[8:11], v128 offset1:96
	v_cndmask_b32_e32 v44, v4, v72, vcc
	v_lshl_add_u64 v[4:5], v[44:45], 3, s[4:5]
	global_load_dwordx2 v[46:47], v[4:5], off offset:2800
	v_lshl_add_u64 v[4:5], v[64:65], 3, s[4:5]
	global_load_dwordx2 v[48:49], v[4:5], off offset:2800
	ds_read2_b64 v[14:17], v121 offset0:128 offset1:224
	s_movk_i32 s2, 0x47
	v_cmp_lt_u32_e32 vcc, s2, v62
	v_add_u32_e32 v72, 0x1400, v118
	v_mul_u32_u24_e32 v13, 0x1680, v13
	v_add3_u32 v13, 0, v13, v133
	s_movk_i32 s2, 0x3000
	s_waitcnt vmcnt(12) lgkmcnt(1)
	v_pk_mul_f32 v[50:51], v[22:23], v[8:9] op_sel:[0,1]
	s_nop 0
	v_pk_fma_f32 v[52:53], v[22:23], v[8:9], v[50:51] op_sel:[0,0,1] op_sel_hi:[1,1,0]
	v_pk_fma_f32 v[22:23], v[22:23], v[8:9], v[50:51] op_sel:[0,0,1] op_sel_hi:[1,0,0] neg_lo:[1,0,0] neg_hi:[1,0,0]
	v_pk_mul_f32 v[8:9], v[10:11], v[18:19] op_sel:[0,1]
	v_mov_b32_e32 v53, v23
	v_pk_fma_f32 v[50:51], v[10:11], v[18:19], v[8:9] op_sel:[0,0,1] op_sel_hi:[1,1,0]
	v_pk_fma_f32 v[54:55], v[10:11], v[18:19], v[8:9] op_sel:[0,0,1] op_sel_hi:[1,0,0] neg_lo:[0,0,1] neg_hi:[0,0,1]
	ds_read2_b64 v[8:11], v125 offset0:128 offset1:224
	s_waitcnt vmcnt(11) lgkmcnt(1)
	v_pk_mul_f32 v[18:19], v[14:15], v[24:25] op_sel:[0,1]
	v_mov_b32_e32 v51, v55
	v_pk_fma_f32 v[56:57], v[14:15], v[24:25], v[18:19] op_sel:[0,0,1] op_sel_hi:[1,1,0]
	v_pk_fma_f32 v[58:59], v[14:15], v[24:25], v[18:19] op_sel:[0,0,1] op_sel_hi:[1,0,0] neg_lo:[0,0,1] neg_hi:[0,0,1]
	v_pk_mul_f32 v[14:15], v[16:17], v[20:21] op_sel:[0,1]
	s_waitcnt vmcnt(10) lgkmcnt(0)
	v_pk_mul_f32 v[18:19], v[10:11], v[26:27] op_sel:[0,1]
	v_pk_fma_f32 v[64:65], v[16:17], v[20:21], v[14:15] op_sel:[0,0,1] op_sel_hi:[1,1,0]
	v_pk_fma_f32 v[74:75], v[16:17], v[20:21], v[14:15] op_sel:[0,0,1] op_sel_hi:[1,0,0] neg_lo:[0,0,1] neg_hi:[0,0,1]
	ds_read2_b64 v[14:17], v124 offset0:64 offset1:160
	v_pk_fma_f32 v[76:77], v[10:11], v[26:27], v[18:19] op_sel:[0,0,1] op_sel_hi:[1,1,0]
	v_pk_fma_f32 v[84:85], v[10:11], v[26:27], v[18:19] op_sel:[0,0,1] op_sel_hi:[1,0,0] neg_lo:[0,0,1] neg_hi:[0,0,1]
	s_waitcnt vmcnt(9)
	v_pk_mul_f32 v[10:11], v[8:9], v[28:29] op_sel:[0,1]
	v_mov_b32_e32 v57, v59
	v_pk_fma_f32 v[86:87], v[8:9], v[28:29], v[10:11] op_sel:[0,0,1] op_sel_hi:[1,1,0]
	v_pk_fma_f32 v[90:91], v[8:9], v[28:29], v[10:11] op_sel:[0,0,1] op_sel_hi:[1,0,0] neg_lo:[0,0,1] neg_hi:[0,0,1]
	ds_read2_b64 v[8:11], v119 offset1:96
	s_waitcnt vmcnt(8) lgkmcnt(1)
	v_pk_mul_f32 v[18:19], v[16:17], v[30:31] op_sel:[0,1]
	v_mov_b32_e32 v65, v75
	v_pk_fma_f32 v[92:93], v[16:17], v[30:31], v[18:19] op_sel:[0,0,1] op_sel_hi:[1,1,0]
	v_pk_fma_f32 v[94:95], v[16:17], v[30:31], v[18:19] op_sel:[0,0,1] op_sel_hi:[1,0,0] neg_lo:[0,0,1] neg_hi:[0,0,1]
	s_waitcnt vmcnt(7)
	v_pk_mul_f32 v[16:17], v[14:15], v[32:33] op_sel:[0,1]
	s_waitcnt vmcnt(6) lgkmcnt(0)
	v_pk_mul_f32 v[18:19], v[10:11], v[34:35] op_sel:[0,1]
	v_pk_fma_f32 v[96:97], v[14:15], v[32:33], v[16:17] op_sel:[0,0,1] op_sel_hi:[1,1,0]
	v_pk_fma_f32 v[32:33], v[14:15], v[32:33], v[16:17] op_sel:[0,0,1] op_sel_hi:[1,0,0] neg_lo:[0,0,1] neg_hi:[0,0,1]
	ds_read2_b64 v[14:17], v127 offset0:64 offset1:160
	v_pk_fma_f32 v[98:99], v[10:11], v[34:35], v[18:19] op_sel:[0,0,1] op_sel_hi:[1,1,0]
	v_pk_fma_f32 v[34:35], v[10:11], v[34:35], v[18:19] op_sel:[0,0,1] op_sel_hi:[1,0,0] neg_lo:[0,0,1] neg_hi:[0,0,1]
	s_waitcnt vmcnt(5)
	v_pk_mul_f32 v[10:11], v[8:9], v[36:37] op_sel:[0,1]
	v_mov_b32_e32 v34, 0x1680
	v_pk_fma_f32 v[100:101], v[8:9], v[36:37], v[10:11] op_sel:[0,0,1] op_sel_hi:[1,1,0]
	v_pk_fma_f32 v[36:37], v[8:9], v[36:37], v[10:11] op_sel:[0,0,1] op_sel_hi:[1,0,0] neg_lo:[0,0,1] neg_hi:[0,0,1]
	ds_read2_b64 v[8:11], v122 offset0:64 offset1:160
	s_waitcnt vmcnt(4) lgkmcnt(1)
	v_pk_mul_f32 v[18:19], v[16:17], v[38:39] op_sel:[0,1]
	v_lshlrev_b32_e32 v32, 3, v44
	v_pk_fma_f32 v[102:103], v[16:17], v[38:39], v[18:19] op_sel:[0,0,1] op_sel_hi:[1,1,0]
	v_pk_fma_f32 v[38:39], v[16:17], v[38:39], v[18:19] op_sel:[0,0,1] op_sel_hi:[1,0,0] neg_lo:[0,0,1] neg_hi:[0,0,1]
	s_waitcnt vmcnt(3)
	v_pk_mul_f32 v[16:17], v[14:15], v[40:41] op_sel:[0,1]
	s_waitcnt vmcnt(2) lgkmcnt(0)
	v_pk_mul_f32 v[18:19], v[10:11], v[42:43] op_sel:[0,1]
	v_pk_fma_f32 v[104:105], v[14:15], v[40:41], v[16:17] op_sel:[0,0,1] op_sel_hi:[1,1,0]
	v_pk_fma_f32 v[40:41], v[14:15], v[40:41], v[16:17] op_sel:[0,0,1] op_sel_hi:[1,0,0] neg_lo:[0,0,1] neg_hi:[0,0,1]
	ds_read2_b64 v[14:17], v123 offset0:64 offset1:160
	v_pk_fma_f32 v[106:107], v[10:11], v[42:43], v[18:19] op_sel:[0,0,1] op_sel_hi:[1,1,0]
	v_pk_fma_f32 v[42:43], v[10:11], v[42:43], v[18:19] op_sel:[0,0,1] op_sel_hi:[1,0,0] neg_lo:[0,0,1] neg_hi:[0,0,1]
	s_waitcnt vmcnt(1)
	v_pk_mul_f32 v[10:11], v[8:9], v[46:47] op_sel:[0,1]
	v_cndmask_b32_e32 v34, 0, v34, vcc
	v_pk_fma_f32 v[108:109], v[8:9], v[46:47], v[10:11] op_sel:[0,0,1] op_sel_hi:[1,1,0]
	v_pk_fma_f32 v[46:47], v[8:9], v[46:47], v[10:11] op_sel:[0,0,1] op_sel_hi:[1,0,0] neg_lo:[0,0,1] neg_hi:[0,0,1]
	ds_read2_b64 v[8:11], v118 offset1:96
	s_waitcnt vmcnt(0) lgkmcnt(1)
	v_pk_mul_f32 v[18:19], v[48:49], v[16:17] op_sel:[0,1]
	v_mov_b32_e32 v109, v47
	v_pk_fma_f32 v[20:21], v[48:49], v[16:17], v[18:19] op_sel:[0,0,1] op_sel_hi:[1,1,0]
	v_pk_fma_f32 v[16:17], v[48:49], v[16:17], v[18:19] op_sel:[0,0,1] op_sel_hi:[1,0,0] neg_lo:[1,0,0] neg_hi:[1,0,0]
	s_waitcnt lgkmcnt(0)
	v_pk_add_f32 v[52:53], v[10:11], v[52:53] neg_lo:[0,1] neg_hi:[0,1]
	v_mov_b32_e32 v21, v17
	v_pk_add_f32 v[48:49], v[8:9], v[20:21] neg_lo:[0,1] neg_hi:[0,1]
	v_pk_fma_f32 v[112:113], v[10:11], 2.0, v[52:53] op_sel_hi:[1,0,1] neg_lo:[0,0,1] neg_hi:[0,0,1]
	v_pk_fma_f32 v[110:111], v[8:9], 2.0, v[48:49] op_sel_hi:[1,0,1] neg_lo:[0,0,1] neg_hi:[0,0,1]
	ds_read_b64 v[114:115], v73
	ds_read_b64 v[116:117], v83
	ds_read2_b64 v[8:11], v126 offset0:128 offset1:224
	ds_read2_b64 v[16:19], v81 offset0:64 offset1:160
	;; [unrolled: 1-line block ×4, first 2 shown]
	ds_read2_b64 v[28:31], v120 offset1:96
	s_waitcnt lgkmcnt(6)
	v_pk_add_f32 v[46:47], v[114:115], v[50:51] neg_lo:[0,1] neg_hi:[0,1]
	s_waitcnt lgkmcnt(0)
	s_barrier
	ds_write2_b64 v118, v[110:111], v[112:113] offset1:96
	ds_write2_b64 v126, v[48:49], v[52:53] offset0:104 offset1:200
	v_pk_fma_f32 v[48:49], v[114:115], 2.0, v[46:47] op_sel_hi:[1,0,1] neg_lo:[0,0,1] neg_hi:[0,0,1]
	v_pk_add_f32 v[44:45], v[116:117], v[108:109] neg_lo:[0,1] neg_hi:[0,1]
	ds_write_b64 v73, v[48:49]
	ds_write_b64 v73, v[46:47] offset:2880
	v_add3_u32 v32, 0, v34, v32
	v_pk_fma_f32 v[46:47], v[116:117], 2.0, v[44:45] op_sel_hi:[1,0,1] neg_lo:[0,0,1] neg_hi:[0,0,1]
	v_mov_b32_e32 v107, v43
	ds_write_b64 v32, v[46:47]
	ds_write_b64 v32, v[44:45] offset:2880
	v_pk_add_f32 v[42:43], v[8:9], v[106:107] neg_lo:[0,1] neg_hi:[0,1]
	v_pk_add_f32 v[44:45], v[10:11], v[56:57] neg_lo:[0,1] neg_hi:[0,1]
	v_pk_fma_f32 v[8:9], v[8:9], 2.0, v[42:43] op_sel_hi:[1,0,1] neg_lo:[0,0,1] neg_hi:[0,0,1]
	v_pk_fma_f32 v[10:11], v[10:11], 2.0, v[44:45] op_sel_hi:[1,0,1] neg_lo:[0,0,1] neg_hi:[0,0,1]
	ds_write2_b64 v72, v[8:9], v[10:11] offset0:104 offset1:200
	v_pk_add_f32 v[8:9], v[16:17], v[64:65] neg_lo:[0,1] neg_hi:[0,1]
	v_add_u32_e32 v10, 0x2400, v118
	ds_write2_b64 v10, v[44:45], v[8:9] offset0:48 offset1:144
	v_pk_fma_f32 v[8:9], v[16:17], 2.0, v[8:9] op_sel_hi:[1,0,1] neg_lo:[0,0,1] neg_hi:[0,0,1]
	v_mov_b32_e32 v105, v41
	ds_write2_b64 v88, v[8:9], v[42:43] offset0:40 offset1:208
	v_pk_add_f32 v[8:9], v[18:19], v[104:105] neg_lo:[0,1] neg_hi:[0,1]
	v_mov_b32_e32 v103, v39
	v_pk_fma_f32 v[10:11], v[18:19], 2.0, v[8:9] op_sel_hi:[1,0,1] neg_lo:[0,0,1] neg_hi:[0,0,1]
	ds_write_b64 v13, v[10:11]
	ds_write_b64 v13, v[8:9] offset:2880
	v_pk_add_f32 v[8:9], v[28:29], v[102:103] neg_lo:[0,1] neg_hi:[0,1]
	v_add_u32_e32 v13, 0, v78
	v_pk_fma_f32 v[10:11], v[28:29], 2.0, v[8:9] op_sel_hi:[1,0,1] neg_lo:[0,0,1] neg_hi:[0,0,1]
	v_mov_b32_e32 v101, v37
	ds_write_b64 v13, v[10:11] offset:11520
	ds_write_b64 v13, v[8:9] offset:14400
	v_pk_add_f32 v[8:9], v[30:31], v[100:101] neg_lo:[0,1] neg_hi:[0,1]
	v_add_u32_e32 v13, 0, v132
	v_pk_fma_f32 v[10:11], v[30:31], 2.0, v[8:9] op_sel_hi:[1,0,1] neg_lo:[0,0,1] neg_hi:[0,0,1]
	v_mov_b32_e32 v77, v85
	ds_write_b64 v13, v[10:11] offset:11520
	ds_write_b64 v13, v[8:9] offset:14400
	v_pk_add_f32 v[8:9], v[14:15], v[76:77] neg_lo:[0,1] neg_hi:[0,1]
	v_mov_b32_e32 v87, v91
	v_mov_b32_e32 v99, v35
	v_pk_fma_f32 v[10:11], v[14:15], 2.0, v[8:9] op_sel_hi:[1,0,1] neg_lo:[0,0,1] neg_hi:[0,0,1]
	v_mov_b32_e32 v93, v95
	v_pk_add_f32 v[14:15], v[22:23], v[86:87] neg_lo:[0,1] neg_hi:[0,1]
	v_mov_b32_e32 v97, v33
	v_pk_add_f32 v[28:29], v[24:25], v[98:99] neg_lo:[0,1] neg_hi:[0,1]
	v_pk_add_f32 v[16:17], v[20:21], v[92:93] neg_lo:[0,1] neg_hi:[0,1]
	v_pk_fma_f32 v[18:19], v[22:23], 2.0, v[14:15] op_sel_hi:[1,0,1] neg_lo:[0,0,1] neg_hi:[0,0,1]
	v_pk_add_f32 v[22:23], v[26:27], v[96:97] neg_lo:[0,1] neg_hi:[0,1]
	v_pk_fma_f32 v[24:25], v[24:25], 2.0, v[28:29] op_sel_hi:[1,0,1] neg_lo:[0,0,1] neg_hi:[0,0,1]
	v_add_u32_e32 v13, 0, v131
	v_mul_u32_u24_e32 v30, 0x1680, v129
	v_pk_fma_f32 v[20:21], v[20:21], 2.0, v[16:17] op_sel_hi:[1,0,1] neg_lo:[0,0,1] neg_hi:[0,0,1]
	v_pk_fma_f32 v[26:27], v[26:27], 2.0, v[22:23] op_sel_hi:[1,0,1] neg_lo:[0,0,1] neg_hi:[0,0,1]
	v_add3_u32 v30, 0, v30, v130
	v_add_u32_e32 v31, 0, v80
	v_add_u32_e32 v32, 0, v89
	;; [unrolled: 1-line block ×3, first 2 shown]
	ds_write_b64 v13, v[24:25] offset:11520
	ds_write_b64 v13, v[28:29] offset:14400
	ds_write_b64 v30, v[26:27]
	ds_write_b64 v30, v[22:23] offset:2880
	ds_write_b64 v31, v[20:21] offset:17280
	ds_write_b64 v31, v[16:17] offset:20160
	ds_write_b64 v32, v[18:19] offset:17280
	ds_write_b64 v32, v[14:15] offset:20160
	ds_write_b64 v33, v[10:11] offset:17280
	ds_write_b64 v33, v[8:9] offset:20160
	v_add_co_u32_e32 v10, vcc, s18, v2
	s_waitcnt lgkmcnt(0)
	s_barrier
	global_load_dwordx2 v[20:21], v[6:7], off offset:2352
	v_addc_co_u32_e32 v11, vcc, 0, v3, vcc
	global_load_dwordx2 v[22:23], v[10:11], off offset:1584
	v_lshl_add_u64 v[8:9], s[4:5], 0, v[68:69]
	v_add_co_u32_e32 v10, vcc, s18, v8
	v_subrev_u32_e32 v13, 48, v62
	s_nop 0
	v_addc_co_u32_e32 v11, vcc, 0, v9, vcc
	global_load_dwordx2 v[24:25], v[10:11], off offset:1584
	v_add_co_u32_e32 v10, vcc, s11, v0
	v_mov_b32_e32 v45, v63
	s_nop 0
	v_addc_co_u32_e32 v11, vcc, 0, v1, vcc
	global_load_dwordx2 v[26:27], v[10:11], off offset:560
	global_load_dwordx2 v[28:29], v[10:11], off offset:1328
	global_load_dwordx2 v[30:31], v[10:11], off offset:2096
	global_load_dwordx2 v[32:33], v[6:7], off offset:2736
	global_load_dwordx2 v[34:35], v[6:7], off offset:3504
	global_load_dwordx2 v[36:37], v[10:11], off offset:944
	global_load_dwordx2 v[38:39], v[10:11], off offset:176
	global_load_dwordx2 v[40:41], v[10:11], off offset:2480
	global_load_dwordx2 v[42:43], v[10:11], off offset:1712
	v_cmp_gt_u32_e32 vcc, 48, v62
	global_load_dwordx2 v[6:7], v[6:7], off offset:1968
	ds_read2_b64 v[16:19], v122 offset0:64 offset1:160
	v_cndmask_b32_e32 v44, v13, v12, vcc
	v_lshl_add_u64 v[12:13], v[44:45], 3, s[4:5]
	v_add_co_u32_e32 v12, vcc, s18, v12
	s_nop 1
	v_addc_co_u32_e32 v13, vcc, 0, v13, vcc
	global_load_dwordx2 v[46:47], v[12:13], off offset:1584
	v_add_co_u32_e32 v12, vcc, s18, v4
	s_nop 1
	v_addc_co_u32_e32 v13, vcc, 0, v5, vcc
	global_load_dwordx2 v[48:49], v[12:13], off offset:1584
	ds_read2_b64 v[12:15], v128 offset1:96
	v_cmp_lt_u32_e32 vcc, 47, v62
	s_waitcnt vmcnt(14) lgkmcnt(0)
	v_pk_mul_f32 v[50:51], v[20:21], v[12:13] op_sel:[0,1]
	s_nop 0
	v_pk_fma_f32 v[52:53], v[20:21], v[12:13], v[50:51] op_sel:[0,0,1] op_sel_hi:[1,1,0]
	v_pk_fma_f32 v[20:21], v[20:21], v[12:13], v[50:51] op_sel:[0,0,1] op_sel_hi:[1,0,0] neg_lo:[1,0,0] neg_hi:[1,0,0]
	s_waitcnt vmcnt(13)
	v_pk_mul_f32 v[12:13], v[22:23], v[14:15] op_sel:[0,1]
	v_mov_b32_e32 v53, v21
	v_pk_fma_f32 v[50:51], v[22:23], v[14:15], v[12:13] op_sel:[0,0,1] op_sel_hi:[1,1,0]
	v_pk_fma_f32 v[54:55], v[22:23], v[14:15], v[12:13] op_sel:[0,0,1] op_sel_hi:[1,0,0] neg_lo:[1,0,0] neg_hi:[1,0,0]
	ds_read2_b64 v[12:15], v121 offset0:128 offset1:224
	v_mov_b32_e32 v51, v55
	s_waitcnt vmcnt(12)
	v_pk_mul_f32 v[22:23], v[16:17], v[24:25] op_sel:[0,1]
	s_nop 0
	v_pk_fma_f32 v[56:57], v[16:17], v[24:25], v[22:23] op_sel:[0,0,1] op_sel_hi:[1,1,0]
	v_pk_fma_f32 v[58:59], v[16:17], v[24:25], v[22:23] op_sel:[0,0,1] op_sel_hi:[1,0,0] neg_lo:[0,0,1] neg_hi:[0,0,1]
	s_waitcnt vmcnt(11)
	v_pk_mul_f32 v[16:17], v[18:19], v[26:27] op_sel:[0,1]
	s_waitcnt vmcnt(10) lgkmcnt(0)
	v_pk_mul_f32 v[22:23], v[12:13], v[28:29] op_sel:[0,1]
	v_pk_fma_f32 v[64:65], v[18:19], v[26:27], v[16:17] op_sel:[0,0,1] op_sel_hi:[1,1,0]
	v_pk_fma_f32 v[68:69], v[18:19], v[26:27], v[16:17] op_sel:[0,0,1] op_sel_hi:[1,0,0] neg_lo:[0,0,1] neg_hi:[0,0,1]
	ds_read2_b64 v[16:19], v119 offset1:96
	v_pk_fma_f32 v[74:75], v[12:13], v[28:29], v[22:23] op_sel:[0,0,1] op_sel_hi:[1,1,0]
	v_pk_fma_f32 v[76:77], v[12:13], v[28:29], v[22:23] op_sel:[0,0,1] op_sel_hi:[1,0,0] neg_lo:[0,0,1] neg_hi:[0,0,1]
	s_waitcnt vmcnt(9)
	v_pk_mul_f32 v[12:13], v[14:15], v[30:31] op_sel:[0,1]
	v_mov_b32_e32 v57, v59
	v_pk_fma_f32 v[84:85], v[14:15], v[30:31], v[12:13] op_sel:[0,0,1] op_sel_hi:[1,1,0]
	v_pk_fma_f32 v[86:87], v[14:15], v[30:31], v[12:13] op_sel:[0,0,1] op_sel_hi:[1,0,0] neg_lo:[0,0,1] neg_hi:[0,0,1]
	ds_read2_b64 v[12:15], v124 offset0:64 offset1:160
	s_waitcnt vmcnt(8) lgkmcnt(1)
	v_pk_mul_f32 v[22:23], v[16:17], v[32:33] op_sel:[0,1]
	v_mov_b32_e32 v65, v69
	v_pk_fma_f32 v[90:91], v[16:17], v[32:33], v[22:23] op_sel:[0,0,1] op_sel_hi:[1,1,0]
	v_pk_fma_f32 v[92:93], v[16:17], v[32:33], v[22:23] op_sel:[0,0,1] op_sel_hi:[1,0,0] neg_lo:[0,0,1] neg_hi:[0,0,1]
	s_waitcnt vmcnt(7)
	v_pk_mul_f32 v[16:17], v[18:19], v[34:35] op_sel:[0,1]
	s_waitcnt vmcnt(5) lgkmcnt(0)
	v_pk_mul_f32 v[22:23], v[12:13], v[38:39] op_sel:[0,1]
	v_pk_fma_f32 v[94:95], v[18:19], v[34:35], v[16:17] op_sel:[0,0,1] op_sel_hi:[1,1,0]
	v_pk_fma_f32 v[96:97], v[18:19], v[34:35], v[16:17] op_sel:[0,0,1] op_sel_hi:[1,0,0] neg_lo:[0,0,1] neg_hi:[0,0,1]
	ds_read2_b64 v[16:19], v125 offset0:128 offset1:224
	v_pk_fma_f32 v[98:99], v[12:13], v[38:39], v[22:23] op_sel:[0,0,1] op_sel_hi:[1,1,0]
	v_pk_fma_f32 v[38:39], v[12:13], v[38:39], v[22:23] op_sel:[0,0,1] op_sel_hi:[1,0,0] neg_lo:[0,0,1] neg_hi:[0,0,1]
	v_pk_mul_f32 v[12:13], v[14:15], v[36:37] op_sel:[0,1]
	v_mov_b32_e32 v75, v77
	v_pk_fma_f32 v[100:101], v[14:15], v[36:37], v[12:13] op_sel:[0,0,1] op_sel_hi:[1,1,0]
	v_pk_fma_f32 v[102:103], v[14:15], v[36:37], v[12:13] op_sel:[0,0,1] op_sel_hi:[1,0,0] neg_lo:[0,0,1] neg_hi:[0,0,1]
	ds_read2_b64 v[12:15], v127 offset0:64 offset1:160
	s_waitcnt vmcnt(3) lgkmcnt(1)
	v_pk_mul_f32 v[22:23], v[16:17], v[42:43] op_sel:[0,1]
	v_mov_b32_e32 v85, v87
	v_pk_fma_f32 v[104:105], v[16:17], v[42:43], v[22:23] op_sel:[0,0,1] op_sel_hi:[1,1,0]
	v_pk_fma_f32 v[42:43], v[16:17], v[42:43], v[22:23] op_sel:[0,0,1] op_sel_hi:[1,0,0] neg_lo:[0,0,1] neg_hi:[0,0,1]
	v_pk_mul_f32 v[16:17], v[18:19], v[40:41] op_sel:[0,1]
	s_waitcnt vmcnt(2) lgkmcnt(0)
	v_pk_mul_f32 v[22:23], v[14:15], v[6:7] op_sel:[0,1]
	v_pk_fma_f32 v[106:107], v[18:19], v[40:41], v[16:17] op_sel:[0,0,1] op_sel_hi:[1,1,0]
	v_pk_fma_f32 v[40:41], v[18:19], v[40:41], v[16:17] op_sel:[0,0,1] op_sel_hi:[1,0,0] neg_lo:[0,0,1] neg_hi:[0,0,1]
	ds_read2_b64 v[16:19], v123 offset0:64 offset1:160
	v_pk_fma_f32 v[108:109], v[14:15], v[6:7], v[22:23] op_sel:[0,0,1] op_sel_hi:[1,1,0]
	v_pk_fma_f32 v[6:7], v[14:15], v[6:7], v[22:23] op_sel:[0,0,1] op_sel_hi:[1,0,0] neg_lo:[0,0,1] neg_hi:[0,0,1]
	s_waitcnt vmcnt(1)
	v_pk_mul_f32 v[14:15], v[12:13], v[46:47] op_sel:[0,1]
	v_lshlrev_b32_e32 v6, 3, v44
	v_pk_fma_f32 v[110:111], v[12:13], v[46:47], v[14:15] op_sel:[0,0,1] op_sel_hi:[1,1,0]
	v_pk_fma_f32 v[46:47], v[12:13], v[46:47], v[14:15] op_sel:[0,0,1] op_sel_hi:[1,0,0] neg_lo:[0,0,1] neg_hi:[0,0,1]
	ds_read2_b64 v[12:15], v118 offset1:96
	s_waitcnt vmcnt(0) lgkmcnt(1)
	v_pk_mul_f32 v[22:23], v[48:49], v[18:19] op_sel:[0,1]
	v_mov_b32_e32 v111, v47
	v_pk_fma_f32 v[24:25], v[48:49], v[18:19], v[22:23] op_sel:[0,0,1] op_sel_hi:[1,1,0]
	v_pk_fma_f32 v[18:19], v[48:49], v[18:19], v[22:23] op_sel:[0,0,1] op_sel_hi:[1,0,0] neg_lo:[1,0,0] neg_hi:[1,0,0]
	s_waitcnt lgkmcnt(0)
	v_pk_add_f32 v[52:53], v[14:15], v[52:53] neg_lo:[0,1] neg_hi:[0,1]
	v_mov_b32_e32 v25, v19
	v_pk_add_f32 v[48:49], v[12:13], v[24:25] neg_lo:[0,1] neg_hi:[0,1]
	ds_read_b64 v[112:113], v73
	ds_read_b64 v[114:115], v83
	ds_read2_b64 v[18:21], v126 offset0:128 offset1:224
	ds_read2_b64 v[22:25], v81 offset0:64 offset1:160
	ds_read2_b64 v[26:29], v120 offset1:96
	ds_read2_b64 v[30:33], v88 offset0:64 offset1:160
	ds_read2_b64 v[34:37], v79 offset0:128 offset1:224
	s_waitcnt lgkmcnt(0)
	s_barrier
	ds_write2_b64 v72, v[48:49], v[52:53] offset0:80 offset1:176
	v_pk_fma_f32 v[12:13], v[12:13], 2.0, v[48:49] op_sel_hi:[1,0,1] neg_lo:[0,0,1] neg_hi:[0,0,1]
	v_pk_add_f32 v[48:49], v[112:113], v[50:51] neg_lo:[0,1] neg_hi:[0,1]
	v_pk_fma_f32 v[14:15], v[14:15], 2.0, v[52:53] op_sel_hi:[1,0,1] neg_lo:[0,0,1] neg_hi:[0,0,1]
	v_pk_fma_f32 v[50:51], v[112:113], 2.0, v[48:49] op_sel_hi:[1,0,1] neg_lo:[0,0,1] neg_hi:[0,0,1]
	ds_write2_b64 v118, v[12:13], v[14:15] offset1:96
	ds_write_b64 v73, v[50:51]
	ds_write_b64 v73, v[48:49] offset:5760
	v_pk_add_f32 v[48:49], v[114:115], v[56:57] neg_lo:[0,1] neg_hi:[0,1]
	v_pk_add_f32 v[12:13], v[18:19], v[64:65] neg_lo:[0,1] neg_hi:[0,1]
	;; [unrolled: 1-line block ×3, first 2 shown]
	v_pk_fma_f32 v[50:51], v[114:115], 2.0, v[48:49] op_sel_hi:[1,0,1] neg_lo:[0,0,1] neg_hi:[0,0,1]
	v_pk_fma_f32 v[18:19], v[18:19], 2.0, v[12:13] op_sel_hi:[1,0,1] neg_lo:[0,0,1] neg_hi:[0,0,1]
	;; [unrolled: 1-line block ×3, first 2 shown]
	ds_write_b64 v83, v[50:51]
	ds_write_b64 v83, v[48:49] offset:5760
	ds_write2_b64 v126, v[18:19], v[20:21] offset0:128 offset1:224
	ds_write2_b64 v79, v[12:13], v[14:15] offset0:80 offset1:176
	v_pk_add_f32 v[12:13], v[22:23], v[84:85] neg_lo:[0,1] neg_hi:[0,1]
	v_pk_add_f32 v[14:15], v[24:25], v[110:111] neg_lo:[0,1] neg_hi:[0,1]
	v_pk_fma_f32 v[18:19], v[22:23], 2.0, v[12:13] op_sel_hi:[1,0,1] neg_lo:[0,0,1] neg_hi:[0,0,1]
	ds_write_b64 v118, v[18:19] offset:4608
	ds_write_b64 v118, v[12:13] offset:10368
	v_mov_b32_e32 v12, 0x2d00
	v_cndmask_b32_e32 v12, 0, v12, vcc
	v_pk_fma_f32 v[20:21], v[24:25], 2.0, v[14:15] op_sel_hi:[1,0,1] neg_lo:[0,0,1] neg_hi:[0,0,1]
	v_add3_u32 v6, 0, v12, v6
	v_mov_b32_e32 v109, v7
	v_mov_b32_e32 v91, v93
	ds_write_b64 v6, v[20:21]
	ds_write_b64 v6, v[14:15] offset:5760
	v_pk_add_f32 v[6:7], v[26:27], v[108:109] neg_lo:[0,1] neg_hi:[0,1]
	v_pk_add_f32 v[12:13], v[28:29], v[90:91] neg_lo:[0,1] neg_hi:[0,1]
	v_pk_fma_f32 v[14:15], v[26:27], 2.0, v[6:7] op_sel_hi:[1,0,1] neg_lo:[0,0,1] neg_hi:[0,0,1]
	v_pk_fma_f32 v[18:19], v[28:29], 2.0, v[12:13] op_sel_hi:[1,0,1] neg_lo:[0,0,1] neg_hi:[0,0,1]
	v_add_u32_e32 v72, 0x2c00, v118
	v_mov_b32_e32 v99, v39
	ds_write2_b64 v72, v[14:15], v[18:19] offset0:80 offset1:176
	v_mov_b32_e32 v95, v97
	v_pk_add_f32 v[18:19], v[32:33], v[98:99] neg_lo:[0,1] neg_hi:[0,1]
	v_mov_b32_e32 v101, v103
	v_mov_b32_e32 v105, v43
	;; [unrolled: 1-line block ×3, first 2 shown]
	v_pk_add_f32 v[14:15], v[30:31], v[94:95] neg_lo:[0,1] neg_hi:[0,1]
	v_pk_fma_f32 v[22:23], v[32:33], 2.0, v[18:19] op_sel_hi:[1,0,1] neg_lo:[0,0,1] neg_hi:[0,0,1]
	v_pk_add_f32 v[24:25], v[34:35], v[100:101] neg_lo:[0,1] neg_hi:[0,1]
	v_pk_add_f32 v[26:27], v[36:37], v[104:105] neg_lo:[0,1] neg_hi:[0,1]
	;; [unrolled: 1-line block ×3, first 2 shown]
	v_add_co_u32_e32 v2, vcc, s11, v2
	v_pk_fma_f32 v[20:21], v[30:31], 2.0, v[14:15] op_sel_hi:[1,0,1] neg_lo:[0,0,1] neg_hi:[0,0,1]
	v_pk_fma_f32 v[28:29], v[34:35], 2.0, v[24:25] op_sel_hi:[1,0,1] neg_lo:[0,0,1] neg_hi:[0,0,1]
	;; [unrolled: 1-line block ×4, first 2 shown]
	ds_write2_b64 v119, v[12:13], v[14:15] offset1:96
	ds_write2_b64 v128, v[20:21], v[22:23] offset0:144 offset1:240
	ds_write2_b64 v124, v[18:19], v[24:25] offset0:64 offset1:160
	;; [unrolled: 1-line block ×5, first 2 shown]
	s_waitcnt lgkmcnt(0)
	s_barrier
	global_load_dwordx2 v[10:11], v[10:11], off offset:4016
	v_addc_co_u32_e32 v3, vcc, 0, v3, vcc
	global_load_dwordx2 v[12:13], v[2:3], off offset:3248
	v_add_co_u32_e32 v2, vcc, s11, v8
	v_lshl_add_u64 v[18:19], s[4:5], 0, v[66:67]
	s_nop 0
	v_addc_co_u32_e32 v3, vcc, 0, v9, vcc
	v_add_co_u32_e32 v6, vcc, s2, v0
	s_movk_i32 s2, 0x4000
	s_nop 0
	v_addc_co_u32_e32 v7, vcc, 0, v1, vcc
	global_load_dwordx2 v[8:9], v[2:3], off offset:3248
	global_load_dwordx2 v[14:15], v[6:7], off offset:2224
	;; [unrolled: 1-line block ×3, first 2 shown]
	v_add_co_u32_e32 v2, vcc, s2, v0
	s_movk_i32 s2, 0x5000
	s_nop 0
	v_addc_co_u32_e32 v3, vcc, 0, v1, vcc
	v_add_co_u32_e32 v18, vcc, s11, v18
	s_nop 1
	v_addc_co_u32_e32 v19, vcc, 0, v19, vcc
	global_load_dwordx2 v[20:21], v[6:7], off offset:3760
	global_load_dwordx2 v[22:23], v[18:19], off offset:3248
	;; [unrolled: 1-line block ×5, first 2 shown]
	v_lshl_add_u64 v[6:7], s[4:5], 0, v[70:71]
	v_add_co_u32_e32 v6, vcc, s11, v6
	s_nop 1
	v_addc_co_u32_e32 v7, vcc, 0, v7, vcc
	v_add_co_u32_e32 v0, vcc, s2, v0
	s_nop 1
	v_addc_co_u32_e32 v1, vcc, 0, v1, vcc
	global_load_dwordx2 v[18:19], v[6:7], off offset:3248
	global_load_dwordx2 v[30:31], v[0:1], off offset:944
	;; [unrolled: 1-line block ×4, first 2 shown]
	v_add_co_u32_e32 v0, vcc, s11, v4
	s_nop 1
	v_addc_co_u32_e32 v1, vcc, 0, v5, vcc
	global_load_dwordx2 v[36:37], v[0:1], off offset:3248
	ds_read2_b64 v[0:3], v128 offset1:96
	ds_read2_b64 v[4:7], v122 offset0:64 offset1:160
	s_waitcnt vmcnt(14) lgkmcnt(1)
	v_pk_mul_f32 v[38:39], v[10:11], v[0:1] op_sel:[0,1]
	s_nop 0
	v_pk_fma_f32 v[40:41], v[10:11], v[0:1], v[38:39] op_sel:[0,0,1] op_sel_hi:[1,1,0]
	v_pk_fma_f32 v[10:11], v[10:11], v[0:1], v[38:39] op_sel:[0,0,1] op_sel_hi:[1,0,0] neg_lo:[1,0,0] neg_hi:[1,0,0]
	s_waitcnt vmcnt(13)
	v_pk_mul_f32 v[0:1], v[12:13], v[2:3] op_sel:[0,1]
	v_mov_b32_e32 v41, v11
	v_pk_fma_f32 v[38:39], v[12:13], v[2:3], v[0:1] op_sel:[0,0,1] op_sel_hi:[1,1,0]
	v_pk_fma_f32 v[42:43], v[12:13], v[2:3], v[0:1] op_sel:[0,0,1] op_sel_hi:[1,0,0] neg_lo:[1,0,0] neg_hi:[1,0,0]
	ds_read2_b64 v[0:3], v121 offset0:128 offset1:224
	v_mov_b32_e32 v39, v43
	s_waitcnt vmcnt(12) lgkmcnt(1)
	v_pk_mul_f32 v[12:13], v[4:5], v[8:9] op_sel:[0,1]
	s_nop 0
	v_pk_fma_f32 v[44:45], v[4:5], v[8:9], v[12:13] op_sel:[0,0,1] op_sel_hi:[1,1,0]
	v_pk_fma_f32 v[46:47], v[4:5], v[8:9], v[12:13] op_sel:[0,0,1] op_sel_hi:[1,0,0] neg_lo:[0,0,1] neg_hi:[0,0,1]
	s_waitcnt vmcnt(11)
	v_pk_mul_f32 v[4:5], v[6:7], v[14:15] op_sel:[0,1]
	s_waitcnt vmcnt(10) lgkmcnt(0)
	v_pk_mul_f32 v[8:9], v[0:1], v[16:17] op_sel:[0,1]
	v_pk_fma_f32 v[48:49], v[6:7], v[14:15], v[4:5] op_sel:[0,0,1] op_sel_hi:[1,1,0]
	v_pk_fma_f32 v[50:51], v[6:7], v[14:15], v[4:5] op_sel:[0,0,1] op_sel_hi:[1,0,0] neg_lo:[0,0,1] neg_hi:[0,0,1]
	ds_read2_b64 v[4:7], v127 offset0:64 offset1:160
	v_pk_fma_f32 v[52:53], v[0:1], v[16:17], v[8:9] op_sel:[0,0,1] op_sel_hi:[1,1,0]
	v_pk_fma_f32 v[54:55], v[0:1], v[16:17], v[8:9] op_sel:[0,0,1] op_sel_hi:[1,0,0] neg_lo:[0,0,1] neg_hi:[0,0,1]
	s_waitcnt vmcnt(9)
	v_pk_mul_f32 v[0:1], v[2:3], v[20:21] op_sel:[0,1]
	v_mov_b32_e32 v45, v47
	v_pk_fma_f32 v[56:57], v[2:3], v[20:21], v[0:1] op_sel:[0,0,1] op_sel_hi:[1,1,0]
	v_pk_fma_f32 v[58:59], v[2:3], v[20:21], v[0:1] op_sel:[0,0,1] op_sel_hi:[1,0,0] neg_lo:[0,0,1] neg_hi:[0,0,1]
	ds_read2_b64 v[0:3], v119 offset1:96
	s_waitcnt vmcnt(7) lgkmcnt(1)
	v_pk_mul_f32 v[8:9], v[4:5], v[24:25] op_sel:[0,1]
	v_mov_b32_e32 v49, v51
	v_pk_fma_f32 v[64:65], v[4:5], v[24:25], v[8:9] op_sel:[0,0,1] op_sel_hi:[1,1,0]
	v_pk_fma_f32 v[66:67], v[4:5], v[24:25], v[8:9] op_sel:[0,0,1] op_sel_hi:[1,0,0] neg_lo:[0,0,1] neg_hi:[0,0,1]
	v_pk_mul_f32 v[4:5], v[6:7], v[22:23] op_sel:[0,1]
	s_waitcnt vmcnt(6) lgkmcnt(0)
	v_pk_mul_f32 v[8:9], v[0:1], v[26:27] op_sel:[0,1]
	v_pk_fma_f32 v[68:69], v[6:7], v[22:23], v[4:5] op_sel:[0,0,1] op_sel_hi:[1,1,0]
	v_pk_fma_f32 v[70:71], v[6:7], v[22:23], v[4:5] op_sel:[0,0,1] op_sel_hi:[1,0,0] neg_lo:[0,0,1] neg_hi:[0,0,1]
	ds_read2_b64 v[4:7], v124 offset0:64 offset1:160
	v_pk_fma_f32 v[74:75], v[0:1], v[26:27], v[8:9] op_sel:[0,0,1] op_sel_hi:[1,1,0]
	v_pk_fma_f32 v[26:27], v[0:1], v[26:27], v[8:9] op_sel:[0,0,1] op_sel_hi:[1,0,0] neg_lo:[0,0,1] neg_hi:[0,0,1]
	s_waitcnt vmcnt(5)
	v_pk_mul_f32 v[0:1], v[2:3], v[28:29] op_sel:[0,1]
	v_mov_b32_e32 v53, v55
	v_pk_fma_f32 v[76:77], v[2:3], v[28:29], v[0:1] op_sel:[0,0,1] op_sel_hi:[1,1,0]
	v_pk_fma_f32 v[28:29], v[2:3], v[28:29], v[0:1] op_sel:[0,0,1] op_sel_hi:[1,0,0] neg_lo:[0,0,1] neg_hi:[0,0,1]
	ds_read2_b64 v[0:3], v125 offset0:128 offset1:224
	s_waitcnt vmcnt(2) lgkmcnt(1)
	v_pk_mul_f32 v[8:9], v[4:5], v[32:33] op_sel:[0,1]
	v_mov_b32_e32 v57, v59
	v_pk_fma_f32 v[84:85], v[4:5], v[32:33], v[8:9] op_sel:[0,0,1] op_sel_hi:[1,1,0]
	v_pk_fma_f32 v[32:33], v[4:5], v[32:33], v[8:9] op_sel:[0,0,1] op_sel_hi:[1,0,0] neg_lo:[0,0,1] neg_hi:[0,0,1]
	v_pk_mul_f32 v[4:5], v[6:7], v[18:19] op_sel:[0,1]
	s_waitcnt lgkmcnt(0)
	v_pk_mul_f32 v[8:9], v[0:1], v[30:31] op_sel:[0,1]
	v_pk_fma_f32 v[86:87], v[6:7], v[18:19], v[4:5] op_sel:[0,0,1] op_sel_hi:[1,1,0]
	v_pk_fma_f32 v[90:91], v[6:7], v[18:19], v[4:5] op_sel:[0,0,1] op_sel_hi:[1,0,0] neg_lo:[0,0,1] neg_hi:[0,0,1]
	ds_read2_b64 v[4:7], v123 offset0:64 offset1:160
	v_pk_fma_f32 v[92:93], v[0:1], v[30:31], v[8:9] op_sel:[0,0,1] op_sel_hi:[1,1,0]
	v_pk_fma_f32 v[30:31], v[0:1], v[30:31], v[8:9] op_sel:[0,0,1] op_sel_hi:[1,0,0] neg_lo:[0,0,1] neg_hi:[0,0,1]
	s_waitcnt vmcnt(1)
	v_pk_mul_f32 v[0:1], v[2:3], v[34:35] op_sel:[0,1]
	v_mov_b32_e32 v65, v67
	v_pk_fma_f32 v[94:95], v[2:3], v[34:35], v[0:1] op_sel:[0,0,1] op_sel_hi:[1,1,0]
	v_pk_fma_f32 v[34:35], v[2:3], v[34:35], v[0:1] op_sel:[0,0,1] op_sel_hi:[1,0,0] neg_lo:[0,0,1] neg_hi:[0,0,1]
	ds_read2_b64 v[0:3], v118 offset1:96
	s_waitcnt vmcnt(0) lgkmcnt(1)
	v_pk_mul_f32 v[8:9], v[36:37], v[6:7] op_sel:[0,1]
	v_mov_b32_e32 v69, v71
	v_pk_fma_f32 v[12:13], v[36:37], v[6:7], v[8:9] op_sel:[0,0,1] op_sel_hi:[1,1,0]
	v_pk_fma_f32 v[6:7], v[36:37], v[6:7], v[8:9] op_sel:[0,0,1] op_sel_hi:[1,0,0] neg_lo:[1,0,0] neg_hi:[1,0,0]
	s_waitcnt lgkmcnt(0)
	v_pk_add_f32 v[40:41], v[2:3], v[40:41] neg_lo:[0,1] neg_hi:[0,1]
	v_mov_b32_e32 v13, v7
	v_pk_add_f32 v[36:37], v[0:1], v[12:13] neg_lo:[0,1] neg_hi:[0,1]
	ds_read_b64 v[96:97], v73
	ds_read_b64 v[98:99], v83
	ds_read2_b64 v[6:9], v126 offset0:128 offset1:224
	ds_read2_b64 v[10:13], v81 offset0:64 offset1:160
	ds_read2_b64 v[14:17], v120 offset1:96
	ds_read2_b64 v[18:21], v88 offset0:64 offset1:160
	ds_read2_b64 v[22:25], v79 offset0:128 offset1:224
	v_pk_fma_f32 v[0:1], v[0:1], 2.0, v[36:37] op_sel_hi:[1,0,1] neg_lo:[0,0,1] neg_hi:[0,0,1]
	v_pk_fma_f32 v[2:3], v[2:3], 2.0, v[40:41] op_sel_hi:[1,0,1] neg_lo:[0,0,1] neg_hi:[0,0,1]
	s_waitcnt lgkmcnt(0)
	s_barrier
	ds_write2_b64 v118, v[0:1], v[2:3] offset1:96
	v_pk_add_f32 v[0:1], v[96:97], v[38:39] neg_lo:[0,1] neg_hi:[0,1]
	v_pk_add_f32 v[44:45], v[98:99], v[44:45] neg_lo:[0,1] neg_hi:[0,1]
	v_pk_fma_f32 v[2:3], v[96:97], 2.0, v[0:1] op_sel_hi:[1,0,1] neg_lo:[0,0,1] neg_hi:[0,0,1]
	ds_write2_b64 v72, v[36:37], v[40:41] offset0:32 offset1:128
	ds_write_b64 v73, v[2:3]
	ds_write_b64 v73, v[0:1] offset:11520
	v_pk_add_f32 v[0:1], v[6:7], v[48:49] neg_lo:[0,1] neg_hi:[0,1]
	v_pk_add_f32 v[2:3], v[8:9], v[52:53] neg_lo:[0,1] neg_hi:[0,1]
	;; [unrolled: 1-line block ×4, first 2 shown]
	v_mov_b32_e32 v75, v27
	v_pk_fma_f32 v[46:47], v[98:99], 2.0, v[44:45] op_sel_hi:[1,0,1] neg_lo:[0,0,1] neg_hi:[0,0,1]
	v_pk_fma_f32 v[6:7], v[6:7], 2.0, v[0:1] op_sel_hi:[1,0,1] neg_lo:[0,0,1] neg_hi:[0,0,1]
	;; [unrolled: 1-line block ×5, first 2 shown]
	v_pk_add_f32 v[26:27], v[14:15], v[68:69] neg_lo:[0,1] neg_hi:[0,1]
	v_pk_add_f32 v[40:41], v[16:17], v[74:75] neg_lo:[0,1] neg_hi:[0,1]
	v_mov_b32_e32 v77, v29
	v_mov_b32_e32 v85, v33
	;; [unrolled: 1-line block ×5, first 2 shown]
	ds_write_b64 v83, v[46:47]
	ds_write_b64 v83, v[44:45] offset:11520
	ds_write2_b64 v126, v[6:7], v[8:9] offset0:128 offset1:224
	ds_write2_b64 v121, v[0:1], v[2:3] offset0:32 offset1:128
	;; [unrolled: 1-line block ×3, first 2 shown]
	v_add_u32_e32 v0, 0x3c00, v118
	v_pk_fma_f32 v[14:15], v[14:15], 2.0, v[26:27] op_sel_hi:[1,0,1] neg_lo:[0,0,1] neg_hi:[0,0,1]
	v_pk_fma_f32 v[16:17], v[16:17], 2.0, v[40:41] op_sel_hi:[1,0,1] neg_lo:[0,0,1] neg_hi:[0,0,1]
	v_pk_add_f32 v[28:29], v[18:19], v[76:77] neg_lo:[0,1] neg_hi:[0,1]
	v_pk_add_f32 v[32:33], v[20:21], v[84:85] neg_lo:[0,1] neg_hi:[0,1]
	;; [unrolled: 1-line block ×5, first 2 shown]
	ds_write2_b64 v0, v[36:37], v[38:39] offset0:96 offset1:192
	ds_write2_b64 v120, v[14:15], v[16:17] offset1:96
	v_add_u32_e32 v0, 0x4400, v118
	v_pk_fma_f32 v[18:19], v[18:19], 2.0, v[28:29] op_sel_hi:[1,0,1] neg_lo:[0,0,1] neg_hi:[0,0,1]
	v_pk_fma_f32 v[20:21], v[20:21], 2.0, v[32:33] op_sel_hi:[1,0,1] neg_lo:[0,0,1] neg_hi:[0,0,1]
	;; [unrolled: 1-line block ×5, first 2 shown]
	ds_write2_b64 v0, v[26:27], v[40:41] offset0:32 offset1:128
	ds_write2_b64 v88, v[18:19], v[20:21] offset0:64 offset1:160
	;; [unrolled: 1-line block ×5, first 2 shown]
	ds_write_b64 v118, v[4:5] offset:10752
	ds_write_b64 v118, v[34:35] offset:22272
	s_waitcnt lgkmcnt(0)
	s_barrier
	s_and_saveexec_b64 s[2:3], s[0:1]
	s_cbranch_execz .LBB0_19
; %bb.18:
	v_lshl_add_u32 v10, v62, 3, 0
	ds_read2_b64 v[0:3], v10 offset1:96
	v_lshl_add_u64 v[4:5], v[62:63], 3, v[60:61]
	v_add_u32_e32 v6, 0x60, v62
	v_mov_b32_e32 v7, v63
	v_lshl_add_u64 v[8:9], v[6:7], 3, v[60:61]
	s_waitcnt lgkmcnt(0)
	global_store_dwordx2 v[4:5], v[0:1], off
	v_add_u32_e32 v0, 0x400, v10
	ds_read2_b64 v[4:7], v0 offset0:64 offset1:160
	v_add_u32_e32 v0, 0xc0, v62
	v_mov_b32_e32 v1, v63
	v_lshl_add_u64 v[0:1], v[0:1], 3, v[60:61]
	global_store_dwordx2 v[8:9], v[2:3], off
	s_waitcnt lgkmcnt(0)
	global_store_dwordx2 v[0:1], v[4:5], off
	v_add_u32_e32 v0, 0x120, v62
	v_mov_b32_e32 v1, v63
	v_lshl_add_u64 v[4:5], v[0:1], 3, v[60:61]
	v_add_u32_e32 v0, 0x800, v10
	ds_read2_b64 v[0:3], v0 offset0:128 offset1:224
	global_store_dwordx2 v[4:5], v[6:7], off
	v_add_u32_e32 v4, 0x180, v62
	v_mov_b32_e32 v5, v63
	v_lshl_add_u64 v[4:5], v[4:5], 3, v[60:61]
	s_waitcnt lgkmcnt(0)
	global_store_dwordx2 v[4:5], v[0:1], off
	v_add_u32_e32 v4, 0x1000, v10
	ds_read2_b64 v[4:7], v4 offset0:64 offset1:160
	v_add_u32_e32 v0, 0x1e0, v62
	v_mov_b32_e32 v1, v63
	v_lshl_add_u64 v[0:1], v[0:1], 3, v[60:61]
	global_store_dwordx2 v[0:1], v[2:3], off
	v_add_u32_e32 v0, 0x240, v62
	v_mov_b32_e32 v1, v63
	v_lshl_add_u64 v[0:1], v[0:1], 3, v[60:61]
	s_waitcnt lgkmcnt(0)
	global_store_dwordx2 v[0:1], v[4:5], off
	v_add_u32_e32 v0, 0x2a0, v62
	v_mov_b32_e32 v1, v63
	v_lshl_add_u64 v[4:5], v[0:1], 3, v[60:61]
	v_add_u32_e32 v0, 0x1800, v10
	ds_read2_b64 v[0:3], v0 offset1:96
	global_store_dwordx2 v[4:5], v[6:7], off
	v_add_u32_e32 v4, 0x300, v62
	v_mov_b32_e32 v5, v63
	v_lshl_add_u64 v[4:5], v[4:5], 3, v[60:61]
	s_waitcnt lgkmcnt(0)
	global_store_dwordx2 v[4:5], v[0:1], off
	v_add_u32_e32 v4, 0x1c00, v10
	ds_read2_b64 v[4:7], v4 offset0:64 offset1:160
	v_add_u32_e32 v0, 0x360, v62
	v_mov_b32_e32 v1, v63
	v_lshl_add_u64 v[0:1], v[0:1], 3, v[60:61]
	global_store_dwordx2 v[0:1], v[2:3], off
	v_add_u32_e32 v0, 0x3c0, v62
	v_mov_b32_e32 v1, v63
	v_lshl_add_u64 v[0:1], v[0:1], 3, v[60:61]
	s_waitcnt lgkmcnt(0)
	global_store_dwordx2 v[0:1], v[4:5], off
	v_add_u32_e32 v0, 0x420, v62
	v_mov_b32_e32 v1, v63
	v_lshl_add_u64 v[4:5], v[0:1], 3, v[60:61]
	v_add_u32_e32 v0, 0x2000, v10
	ds_read2_b64 v[0:3], v0 offset0:128 offset1:224
	global_store_dwordx2 v[4:5], v[6:7], off
	v_add_u32_e32 v4, 0x480, v62
	v_mov_b32_e32 v5, v63
	v_lshl_add_u64 v[4:5], v[4:5], 3, v[60:61]
	s_waitcnt lgkmcnt(0)
	global_store_dwordx2 v[4:5], v[0:1], off
	v_add_u32_e32 v4, 0x2800, v10
	ds_read2_b64 v[4:7], v4 offset0:64 offset1:160
	v_add_u32_e32 v0, 0x4e0, v62
	v_mov_b32_e32 v1, v63
	v_lshl_add_u64 v[0:1], v[0:1], 3, v[60:61]
	global_store_dwordx2 v[0:1], v[2:3], off
	v_add_u32_e32 v0, 0x540, v62
	v_mov_b32_e32 v1, v63
	v_lshl_add_u64 v[0:1], v[0:1], 3, v[60:61]
	s_waitcnt lgkmcnt(0)
	global_store_dwordx2 v[0:1], v[4:5], off
	v_add_u32_e32 v0, 0x5a0, v62
	v_mov_b32_e32 v1, v63
	v_lshl_add_u64 v[4:5], v[0:1], 3, v[60:61]
	v_add_u32_e32 v0, 0x3000, v10
	ds_read2_b64 v[0:3], v0 offset1:96
	global_store_dwordx2 v[4:5], v[6:7], off
	v_add_u32_e32 v4, 0x600, v62
	v_mov_b32_e32 v5, v63
	v_lshl_add_u64 v[4:5], v[4:5], 3, v[60:61]
	s_waitcnt lgkmcnt(0)
	global_store_dwordx2 v[4:5], v[0:1], off
	v_add_u32_e32 v4, 0x3400, v10
	ds_read2_b64 v[4:7], v4 offset0:64 offset1:160
	v_add_u32_e32 v0, 0x660, v62
	v_mov_b32_e32 v1, v63
	v_lshl_add_u64 v[0:1], v[0:1], 3, v[60:61]
	global_store_dwordx2 v[0:1], v[2:3], off
	v_add_u32_e32 v0, 0x6c0, v62
	v_mov_b32_e32 v1, v63
	v_lshl_add_u64 v[0:1], v[0:1], 3, v[60:61]
	;; [unrolled: 44-line block ×3, first 2 shown]
	s_waitcnt lgkmcnt(0)
	global_store_dwordx2 v[0:1], v[4:5], off
	v_add_u32_e32 v0, 0xa20, v62
	v_mov_b32_e32 v1, v63
	v_lshl_add_u64 v[4:5], v[0:1], 3, v[60:61]
	v_add_u32_e32 v0, 0x5000, v10
	ds_read2_b64 v[0:3], v0 offset0:128 offset1:224
	global_store_dwordx2 v[4:5], v[6:7], off
	v_add_u32_e32 v4, 0xa80, v62
	v_mov_b32_e32 v5, v63
	v_lshl_add_u64 v[4:5], v[4:5], 3, v[60:61]
	v_add_u32_e32 v62, 0xae0, v62
	s_waitcnt lgkmcnt(0)
	global_store_dwordx2 v[4:5], v[0:1], off
	v_lshl_add_u64 v[0:1], v[62:63], 3, v[60:61]
	global_store_dwordx2 v[0:1], v[2:3], off
.LBB0_19:
	s_endpgm
	.section	.rodata,"a",@progbits
	.p2align	6, 0x0
	.amdhsa_kernel fft_rtc_back_len2880_factors_10_6_6_2_2_2_wgs_96_tpt_96_halfLds_sp_ip_CI_unitstride_sbrr_C2R_dirReg
		.amdhsa_group_segment_fixed_size 0
		.amdhsa_private_segment_fixed_size 0
		.amdhsa_kernarg_size 88
		.amdhsa_user_sgpr_count 2
		.amdhsa_user_sgpr_dispatch_ptr 0
		.amdhsa_user_sgpr_queue_ptr 0
		.amdhsa_user_sgpr_kernarg_segment_ptr 1
		.amdhsa_user_sgpr_dispatch_id 0
		.amdhsa_user_sgpr_kernarg_preload_length 0
		.amdhsa_user_sgpr_kernarg_preload_offset 0
		.amdhsa_user_sgpr_private_segment_size 0
		.amdhsa_uses_dynamic_stack 0
		.amdhsa_enable_private_segment 0
		.amdhsa_system_sgpr_workgroup_id_x 1
		.amdhsa_system_sgpr_workgroup_id_y 0
		.amdhsa_system_sgpr_workgroup_id_z 0
		.amdhsa_system_sgpr_workgroup_info 0
		.amdhsa_system_vgpr_workitem_id 0
		.amdhsa_next_free_vgpr 160
		.amdhsa_next_free_sgpr 22
		.amdhsa_accum_offset 160
		.amdhsa_reserve_vcc 1
		.amdhsa_float_round_mode_32 0
		.amdhsa_float_round_mode_16_64 0
		.amdhsa_float_denorm_mode_32 3
		.amdhsa_float_denorm_mode_16_64 3
		.amdhsa_dx10_clamp 1
		.amdhsa_ieee_mode 1
		.amdhsa_fp16_overflow 0
		.amdhsa_tg_split 0
		.amdhsa_exception_fp_ieee_invalid_op 0
		.amdhsa_exception_fp_denorm_src 0
		.amdhsa_exception_fp_ieee_div_zero 0
		.amdhsa_exception_fp_ieee_overflow 0
		.amdhsa_exception_fp_ieee_underflow 0
		.amdhsa_exception_fp_ieee_inexact 0
		.amdhsa_exception_int_div_zero 0
	.end_amdhsa_kernel
	.text
.Lfunc_end0:
	.size	fft_rtc_back_len2880_factors_10_6_6_2_2_2_wgs_96_tpt_96_halfLds_sp_ip_CI_unitstride_sbrr_C2R_dirReg, .Lfunc_end0-fft_rtc_back_len2880_factors_10_6_6_2_2_2_wgs_96_tpt_96_halfLds_sp_ip_CI_unitstride_sbrr_C2R_dirReg
                                        ; -- End function
	.section	.AMDGPU.csdata,"",@progbits
; Kernel info:
; codeLenInByte = 18396
; NumSgprs: 28
; NumVgprs: 160
; NumAgprs: 0
; TotalNumVgprs: 160
; ScratchSize: 0
; MemoryBound: 0
; FloatMode: 240
; IeeeMode: 1
; LDSByteSize: 0 bytes/workgroup (compile time only)
; SGPRBlocks: 3
; VGPRBlocks: 19
; NumSGPRsForWavesPerEU: 28
; NumVGPRsForWavesPerEU: 160
; AccumOffset: 160
; Occupancy: 3
; WaveLimiterHint : 1
; COMPUTE_PGM_RSRC2:SCRATCH_EN: 0
; COMPUTE_PGM_RSRC2:USER_SGPR: 2
; COMPUTE_PGM_RSRC2:TRAP_HANDLER: 0
; COMPUTE_PGM_RSRC2:TGID_X_EN: 1
; COMPUTE_PGM_RSRC2:TGID_Y_EN: 0
; COMPUTE_PGM_RSRC2:TGID_Z_EN: 0
; COMPUTE_PGM_RSRC2:TIDIG_COMP_CNT: 0
; COMPUTE_PGM_RSRC3_GFX90A:ACCUM_OFFSET: 39
; COMPUTE_PGM_RSRC3_GFX90A:TG_SPLIT: 0
	.text
	.p2alignl 6, 3212836864
	.fill 256, 4, 3212836864
	.type	__hip_cuid_a2c2dd155bc07671,@object ; @__hip_cuid_a2c2dd155bc07671
	.section	.bss,"aw",@nobits
	.globl	__hip_cuid_a2c2dd155bc07671
__hip_cuid_a2c2dd155bc07671:
	.byte	0                               ; 0x0
	.size	__hip_cuid_a2c2dd155bc07671, 1

	.ident	"AMD clang version 19.0.0git (https://github.com/RadeonOpenCompute/llvm-project roc-6.4.0 25133 c7fe45cf4b819c5991fe208aaa96edf142730f1d)"
	.section	".note.GNU-stack","",@progbits
	.addrsig
	.addrsig_sym __hip_cuid_a2c2dd155bc07671
	.amdgpu_metadata
---
amdhsa.kernels:
  - .agpr_count:     0
    .args:
      - .actual_access:  read_only
        .address_space:  global
        .offset:         0
        .size:           8
        .value_kind:     global_buffer
      - .offset:         8
        .size:           8
        .value_kind:     by_value
      - .actual_access:  read_only
        .address_space:  global
        .offset:         16
        .size:           8
        .value_kind:     global_buffer
      - .actual_access:  read_only
        .address_space:  global
        .offset:         24
        .size:           8
        .value_kind:     global_buffer
      - .offset:         32
        .size:           8
        .value_kind:     by_value
      - .actual_access:  read_only
        .address_space:  global
        .offset:         40
        .size:           8
        .value_kind:     global_buffer
      - .actual_access:  read_only
        .address_space:  global
        .offset:         48
        .size:           8
        .value_kind:     global_buffer
      - .offset:         56
        .size:           4
        .value_kind:     by_value
      - .actual_access:  read_only
        .address_space:  global
        .offset:         64
        .size:           8
        .value_kind:     global_buffer
      - .actual_access:  read_only
        .address_space:  global
        .offset:         72
        .size:           8
        .value_kind:     global_buffer
      - .address_space:  global
        .offset:         80
        .size:           8
        .value_kind:     global_buffer
    .group_segment_fixed_size: 0
    .kernarg_segment_align: 8
    .kernarg_segment_size: 88
    .language:       OpenCL C
    .language_version:
      - 2
      - 0
    .max_flat_workgroup_size: 96
    .name:           fft_rtc_back_len2880_factors_10_6_6_2_2_2_wgs_96_tpt_96_halfLds_sp_ip_CI_unitstride_sbrr_C2R_dirReg
    .private_segment_fixed_size: 0
    .sgpr_count:     28
    .sgpr_spill_count: 0
    .symbol:         fft_rtc_back_len2880_factors_10_6_6_2_2_2_wgs_96_tpt_96_halfLds_sp_ip_CI_unitstride_sbrr_C2R_dirReg.kd
    .uniform_work_group_size: 1
    .uses_dynamic_stack: false
    .vgpr_count:     160
    .vgpr_spill_count: 0
    .wavefront_size: 64
amdhsa.target:   amdgcn-amd-amdhsa--gfx950
amdhsa.version:
  - 1
  - 2
...

	.end_amdgpu_metadata
